;; amdgpu-corpus repo=ROCm/rocFFT kind=compiled arch=gfx906 opt=O3
	.text
	.amdgcn_target "amdgcn-amd-amdhsa--gfx906"
	.amdhsa_code_object_version 6
	.protected	fft_rtc_back_len169_factors_13_13_wgs_156_tpt_13_dp_ip_CI_sbcc_twdbase6_3step_dirReg_intrinsicRead ; -- Begin function fft_rtc_back_len169_factors_13_13_wgs_156_tpt_13_dp_ip_CI_sbcc_twdbase6_3step_dirReg_intrinsicRead
	.globl	fft_rtc_back_len169_factors_13_13_wgs_156_tpt_13_dp_ip_CI_sbcc_twdbase6_3step_dirReg_intrinsicRead
	.p2align	8
	.type	fft_rtc_back_len169_factors_13_13_wgs_156_tpt_13_dp_ip_CI_sbcc_twdbase6_3step_dirReg_intrinsicRead,@function
fft_rtc_back_len169_factors_13_13_wgs_156_tpt_13_dp_ip_CI_sbcc_twdbase6_3step_dirReg_intrinsicRead: ; @fft_rtc_back_len169_factors_13_13_wgs_156_tpt_13_dp_ip_CI_sbcc_twdbase6_3step_dirReg_intrinsicRead
; %bb.0:
	s_load_dwordx2 s[20:21], s[4:5], 0x58
	s_load_dwordx2 s[42:43], s[4:5], 0x0
	s_load_dwordx8 s[8:15], s[4:5], 0x8
	s_mov_b64 s[54:55], s[2:3]
	s_mov_b64 s[52:53], s[0:1]
	s_add_u32 s52, s52, s7
	s_movk_i32 s0, 0xc0
	s_addc_u32 s53, s53, 0
	v_cmp_gt_u32_e32 vcc, s0, v0
	s_and_saveexec_b64 s[2:3], vcc
	s_cbranch_execz .LBB0_3
; %bb.1:
	v_add_co_u32_e32 v1, vcc, 0xffffff64, v0
	v_lshlrev_b32_e32 v5, 4, v0
	v_addc_co_u32_e64 v2, s[0:1], 0, -1, vcc
	s_waitcnt lgkmcnt(0)
	v_mov_b32_e32 v4, s9
	v_add_co_u32_e32 v3, vcc, s8, v5
	v_add_u32_e32 v5, 0, v5
	v_addc_co_u32_e32 v4, vcc, 0, v4, vcc
	v_add_u32_e32 v5, 0x7ec0, v5
	s_mov_b64 s[4:5], 0
.LBB0_2:                                ; =>This Inner Loop Header: Depth=1
	global_load_dwordx4 v[6:9], v[3:4], off
	v_add_co_u32_e32 v1, vcc, 0x9c, v1
	v_addc_co_u32_e32 v2, vcc, 0, v2, vcc
	v_cmp_lt_u64_e64 s[0:1], 35, v[1:2]
	v_add_co_u32_e32 v3, vcc, 0x9c0, v3
	v_addc_co_u32_e32 v4, vcc, 0, v4, vcc
	s_or_b64 s[4:5], s[0:1], s[4:5]
	s_waitcnt vmcnt(0)
	ds_write2_b64 v5, v[6:7], v[8:9] offset1:1
	v_add_u32_e32 v5, 0x9c0, v5
	s_andn2_b64 exec, exec, s[4:5]
	s_cbranch_execnz .LBB0_2
.LBB0_3:
	s_or_b64 exec, exec, s[2:3]
	s_waitcnt lgkmcnt(0)
	s_load_dwordx2 s[4:5], s[12:13], 0x8
	s_mov_b32 s7, 0
	s_waitcnt lgkmcnt(0)
	s_add_u32 s0, s4, -1
	s_addc_u32 s1, s5, -1
	s_add_u32 s2, 0, 0x55540000
	s_addc_u32 s3, 0, 0x55
	s_mul_hi_u32 s9, s2, -12
	s_add_i32 s3, s3, 0x15555500
	s_sub_i32 s9, s9, s2
	s_mul_i32 s18, s3, -12
	s_mul_i32 s8, s2, -12
	s_add_i32 s9, s9, s18
	s_mul_hi_u32 s16, s3, s8
	s_mul_i32 s17, s3, s8
	s_mul_i32 s19, s2, s9
	s_mul_hi_u32 s8, s2, s8
	s_mul_hi_u32 s18, s2, s9
	s_add_u32 s8, s8, s19
	s_addc_u32 s18, 0, s18
	s_add_u32 s8, s8, s17
	s_mul_hi_u32 s19, s3, s9
	s_addc_u32 s8, s18, s16
	s_addc_u32 s16, s19, 0
	s_mul_i32 s9, s3, s9
	s_add_u32 s8, s8, s9
	v_mov_b32_e32 v1, s8
	s_addc_u32 s9, 0, s16
	v_add_co_u32_e32 v1, vcc, s2, v1
	s_cmp_lg_u64 vcc, 0
	s_addc_u32 s2, s3, s9
	v_readfirstlane_b32 s9, v1
	s_mul_i32 s8, s0, s2
	s_mul_hi_u32 s16, s0, s9
	s_mul_hi_u32 s3, s0, s2
	s_add_u32 s8, s16, s8
	s_addc_u32 s3, 0, s3
	s_mul_hi_u32 s17, s1, s9
	s_mul_i32 s9, s1, s9
	s_add_u32 s8, s8, s9
	s_mul_hi_u32 s16, s1, s2
	s_addc_u32 s3, s3, s17
	s_addc_u32 s8, s16, 0
	s_mul_i32 s2, s1, s2
	s_add_u32 s2, s3, s2
	s_addc_u32 s3, 0, s8
	s_add_u32 s8, s2, 1
	s_addc_u32 s9, s3, 0
	s_add_u32 s16, s2, 2
	s_mul_i32 s18, s3, 12
	s_mul_hi_u32 s19, s2, 12
	s_addc_u32 s17, s3, 0
	s_add_i32 s19, s19, s18
	s_mul_i32 s18, s2, 12
	v_mov_b32_e32 v1, s18
	v_sub_co_u32_e32 v1, vcc, s0, v1
	s_cmp_lg_u64 vcc, 0
	s_subb_u32 s0, s1, s19
	v_subrev_co_u32_e32 v2, vcc, 12, v1
	s_cmp_lg_u64 vcc, 0
	s_subb_u32 s1, s0, 0
	v_readfirstlane_b32 s18, v2
	s_cmp_gt_u32 s18, 11
	s_cselect_b32 s18, -1, 0
	s_cmp_eq_u32 s1, 0
	s_cselect_b32 s1, s18, -1
	s_cmp_lg_u32 s1, 0
	s_cselect_b32 s1, s16, s8
	s_cselect_b32 s8, s17, s9
	v_readfirstlane_b32 s9, v1
	s_cmp_gt_u32 s9, 11
	s_cselect_b32 s9, -1, 0
	s_cmp_eq_u32 s0, 0
	s_cselect_b32 s0, s9, -1
	s_cmp_lg_u32 s0, 0
	s_cselect_b32 s1, s1, s2
	s_cselect_b32 s0, s8, s3
	s_add_u32 s2, s1, 1
	s_addc_u32 s3, s0, 0
	v_mov_b32_e32 v1, s2
	v_mov_b32_e32 v2, s3
	v_cmp_lt_u64_e32 vcc, s[6:7], v[1:2]
	s_mov_b64 s[8:9], 0
	s_cbranch_vccnz .LBB0_5
; %bb.4:
	v_cvt_f32_u32_e32 v1, s2
	s_sub_i32 s0, 0, s2
	v_rcp_iflag_f32_e32 v1, v1
	v_mul_f32_e32 v1, 0x4f7ffffe, v1
	v_cvt_u32_f32_e32 v1, v1
	v_readfirstlane_b32 s1, v1
	s_mul_i32 s0, s0, s1
	s_mul_hi_u32 s0, s1, s0
	s_add_i32 s1, s1, s0
	s_mul_hi_u32 s0, s6, s1
	s_mul_i32 s8, s0, s2
	s_sub_i32 s8, s6, s8
	s_add_i32 s1, s0, 1
	s_sub_i32 s9, s8, s2
	s_cmp_ge_u32 s8, s2
	s_cselect_b32 s0, s1, s0
	s_cselect_b32 s8, s9, s8
	s_add_i32 s1, s0, 1
	s_cmp_ge_u32 s8, s2
	s_cselect_b32 s8, s1, s0
	s_mov_b32 s9, s7
.LBB0_5:
	s_mul_i32 s0, s8, s3
	s_mul_hi_u32 s1, s8, s2
	s_load_dwordx4 s[16:19], s[14:15], 0x0
	s_add_i32 s1, s1, s0
	s_mul_i32 s0, s8, s2
	s_sub_u32 s34, s6, s0
	s_subb_u32 s0, 0, s1
	s_mul_i32 s0, s0, 12
	s_mul_hi_u32 s33, s34, 12
	s_add_i32 s33, s33, s0
	s_mul_i32 s34, s34, 12
	s_waitcnt lgkmcnt(0)
	s_mul_i32 s0, s18, s33
	s_mul_hi_u32 s1, s18, s34
	s_add_i32 s0, s1, s0
	s_mul_i32 s1, s19, s34
	s_add_i32 s35, s0, s1
	v_cmp_lt_u64_e64 s[0:1], s[10:11], 3
	s_mul_i32 s36, s18, s34
	s_and_b64 vcc, exec, s[0:1]
	s_cbranch_vccnz .LBB0_15
; %bb.6:
	s_add_u32 s22, s14, 16
	s_addc_u32 s23, s15, 0
	s_add_u32 s12, s12, 16
	v_mov_b32_e32 v1, s10
	s_addc_u32 s13, s13, 0
	s_mov_b64 s[24:25], 2
	s_mov_b32 s26, 0
	v_mov_b32_e32 v2, s11
.LBB0_7:                                ; =>This Inner Loop Header: Depth=1
	s_load_dwordx2 s[28:29], s[12:13], 0x0
	s_waitcnt lgkmcnt(0)
	s_or_b64 s[0:1], s[8:9], s[28:29]
	s_mov_b32 s27, s1
	s_cmp_lg_u64 s[26:27], 0
	s_cbranch_scc0 .LBB0_12
; %bb.8:                                ;   in Loop: Header=BB0_7 Depth=1
	v_cvt_f32_u32_e32 v3, s28
	v_cvt_f32_u32_e32 v4, s29
	s_sub_u32 s0, 0, s28
	s_subb_u32 s1, 0, s29
	v_mac_f32_e32 v3, 0x4f800000, v4
	v_rcp_f32_e32 v3, v3
	v_mul_f32_e32 v3, 0x5f7ffffc, v3
	v_mul_f32_e32 v4, 0x2f800000, v3
	v_trunc_f32_e32 v4, v4
	v_mac_f32_e32 v3, 0xcf800000, v4
	v_cvt_u32_f32_e32 v4, v4
	v_cvt_u32_f32_e32 v3, v3
	v_readfirstlane_b32 s27, v4
	v_readfirstlane_b32 s30, v3
	s_mul_i32 s31, s0, s27
	s_mul_hi_u32 s38, s0, s30
	s_mul_i32 s37, s1, s30
	s_add_i32 s31, s38, s31
	s_mul_i32 s39, s0, s30
	s_add_i32 s31, s31, s37
	s_mul_hi_u32 s37, s30, s31
	s_mul_i32 s38, s30, s31
	s_mul_hi_u32 s30, s30, s39
	s_add_u32 s30, s30, s38
	s_addc_u32 s37, 0, s37
	s_mul_hi_u32 s40, s27, s39
	s_mul_i32 s39, s27, s39
	s_add_u32 s30, s30, s39
	s_mul_hi_u32 s38, s27, s31
	s_addc_u32 s30, s37, s40
	s_addc_u32 s37, s38, 0
	s_mul_i32 s31, s27, s31
	s_add_u32 s30, s30, s31
	s_addc_u32 s31, 0, s37
	v_add_co_u32_e32 v3, vcc, s30, v3
	s_cmp_lg_u64 vcc, 0
	s_addc_u32 s27, s27, s31
	v_readfirstlane_b32 s31, v3
	s_mul_i32 s30, s0, s27
	s_mul_hi_u32 s37, s0, s31
	s_add_i32 s30, s37, s30
	s_mul_i32 s1, s1, s31
	s_add_i32 s30, s30, s1
	s_mul_i32 s0, s0, s31
	s_mul_hi_u32 s37, s27, s0
	s_mul_i32 s38, s27, s0
	s_mul_i32 s40, s31, s30
	s_mul_hi_u32 s0, s31, s0
	s_mul_hi_u32 s39, s31, s30
	s_add_u32 s0, s0, s40
	s_addc_u32 s31, 0, s39
	s_add_u32 s0, s0, s38
	s_mul_hi_u32 s1, s27, s30
	s_addc_u32 s0, s31, s37
	s_addc_u32 s1, s1, 0
	s_mul_i32 s30, s27, s30
	s_add_u32 s0, s0, s30
	s_addc_u32 s1, 0, s1
	v_add_co_u32_e32 v3, vcc, s0, v3
	s_cmp_lg_u64 vcc, 0
	s_addc_u32 s0, s27, s1
	v_readfirstlane_b32 s30, v3
	s_mul_i32 s27, s8, s0
	s_mul_hi_u32 s31, s8, s30
	s_mul_hi_u32 s1, s8, s0
	s_add_u32 s27, s31, s27
	s_addc_u32 s1, 0, s1
	s_mul_hi_u32 s37, s9, s30
	s_mul_i32 s30, s9, s30
	s_add_u32 s27, s27, s30
	s_mul_hi_u32 s31, s9, s0
	s_addc_u32 s1, s1, s37
	s_addc_u32 s27, s31, 0
	s_mul_i32 s0, s9, s0
	s_add_u32 s30, s1, s0
	s_addc_u32 s27, 0, s27
	s_mul_i32 s0, s28, s27
	s_mul_hi_u32 s1, s28, s30
	s_add_i32 s0, s1, s0
	s_mul_i32 s1, s29, s30
	s_add_i32 s31, s0, s1
	s_mul_i32 s1, s28, s30
	v_mov_b32_e32 v3, s1
	s_sub_i32 s0, s9, s31
	v_sub_co_u32_e32 v3, vcc, s8, v3
	s_cmp_lg_u64 vcc, 0
	s_subb_u32 s37, s0, s29
	v_subrev_co_u32_e64 v4, s[0:1], s28, v3
	s_cmp_lg_u64 s[0:1], 0
	s_subb_u32 s0, s37, 0
	s_cmp_ge_u32 s0, s29
	v_readfirstlane_b32 s37, v4
	s_cselect_b32 s1, -1, 0
	s_cmp_ge_u32 s37, s28
	s_cselect_b32 s37, -1, 0
	s_cmp_eq_u32 s0, s29
	s_cselect_b32 s0, s37, s1
	s_add_u32 s1, s30, 1
	s_addc_u32 s37, s27, 0
	s_add_u32 s38, s30, 2
	s_addc_u32 s39, s27, 0
	s_cmp_lg_u32 s0, 0
	s_cselect_b32 s0, s38, s1
	s_cselect_b32 s1, s39, s37
	s_cmp_lg_u64 vcc, 0
	s_subb_u32 s31, s9, s31
	s_cmp_ge_u32 s31, s29
	v_readfirstlane_b32 s38, v3
	s_cselect_b32 s37, -1, 0
	s_cmp_ge_u32 s38, s28
	s_cselect_b32 s38, -1, 0
	s_cmp_eq_u32 s31, s29
	s_cselect_b32 s31, s38, s37
	s_cmp_lg_u32 s31, 0
	s_cselect_b32 s1, s1, s27
	s_cselect_b32 s0, s0, s30
	s_cbranch_execnz .LBB0_10
.LBB0_9:                                ;   in Loop: Header=BB0_7 Depth=1
	v_cvt_f32_u32_e32 v3, s28
	s_sub_i32 s0, 0, s28
	v_rcp_iflag_f32_e32 v3, v3
	v_mul_f32_e32 v3, 0x4f7ffffe, v3
	v_cvt_u32_f32_e32 v3, v3
	v_readfirstlane_b32 s1, v3
	s_mul_i32 s0, s0, s1
	s_mul_hi_u32 s0, s1, s0
	s_add_i32 s1, s1, s0
	s_mul_hi_u32 s0, s8, s1
	s_mul_i32 s27, s0, s28
	s_sub_i32 s27, s8, s27
	s_add_i32 s1, s0, 1
	s_sub_i32 s30, s27, s28
	s_cmp_ge_u32 s27, s28
	s_cselect_b32 s0, s1, s0
	s_cselect_b32 s27, s30, s27
	s_add_i32 s1, s0, 1
	s_cmp_ge_u32 s27, s28
	s_cselect_b32 s0, s1, s0
	s_mov_b32 s1, s26
.LBB0_10:                               ;   in Loop: Header=BB0_7 Depth=1
	s_mul_i32 s3, s28, s3
	s_mul_hi_u32 s27, s28, s2
	s_add_i32 s3, s27, s3
	s_mul_i32 s27, s29, s2
	s_add_i32 s3, s3, s27
	s_mul_i32 s27, s0, s29
	s_mul_hi_u32 s29, s0, s28
	s_load_dwordx2 s[30:31], s[22:23], 0x0
	s_add_i32 s27, s29, s27
	s_mul_i32 s29, s1, s28
	s_mul_i32 s2, s28, s2
	s_add_i32 s27, s27, s29
	s_mul_i32 s28, s0, s28
	s_sub_u32 s8, s8, s28
	s_subb_u32 s9, s9, s27
	s_waitcnt lgkmcnt(0)
	s_mul_i32 s9, s30, s9
	s_mul_hi_u32 s27, s30, s8
	s_add_i32 s9, s27, s9
	s_mul_i32 s27, s31, s8
	s_add_i32 s9, s9, s27
	s_mul_i32 s8, s30, s8
	s_add_u32 s36, s8, s36
	s_addc_u32 s35, s9, s35
	s_add_u32 s24, s24, 1
	s_addc_u32 s25, s25, 0
	;; [unrolled: 2-line block ×3, first 2 shown]
	v_cmp_ge_u64_e32 vcc, s[24:25], v[1:2]
	s_add_u32 s12, s12, 8
	s_addc_u32 s13, s13, 0
	s_cbranch_vccnz .LBB0_13
; %bb.11:                               ;   in Loop: Header=BB0_7 Depth=1
	s_mov_b64 s[8:9], s[0:1]
	s_branch .LBB0_7
.LBB0_12:                               ;   in Loop: Header=BB0_7 Depth=1
                                        ; implicit-def: $sgpr0_sgpr1
	s_branch .LBB0_9
.LBB0_13:
	v_mov_b32_e32 v1, s2
	v_mov_b32_e32 v2, s3
	v_cmp_lt_u64_e32 vcc, s[6:7], v[1:2]
	s_mov_b64 s[8:9], 0
	s_cbranch_vccnz .LBB0_15
; %bb.14:
	v_cvt_f32_u32_e32 v1, s2
	s_sub_i32 s0, 0, s2
	v_rcp_iflag_f32_e32 v1, v1
	v_mul_f32_e32 v1, 0x4f7ffffe, v1
	v_cvt_u32_f32_e32 v1, v1
	v_readfirstlane_b32 s1, v1
	s_mul_i32 s0, s0, s1
	s_mul_hi_u32 s0, s1, s0
	s_add_i32 s1, s1, s0
	s_mul_hi_u32 s0, s6, s1
	s_mul_i32 s3, s0, s2
	s_sub_i32 s3, s6, s3
	s_add_i32 s1, s0, 1
	s_sub_i32 s6, s3, s2
	s_cmp_ge_u32 s3, s2
	s_cselect_b32 s0, s1, s0
	s_cselect_b32 s3, s6, s3
	s_add_i32 s1, s0, 1
	s_cmp_ge_u32 s3, s2
	s_cselect_b32 s8, s1, s0
.LBB0_15:
	s_lshl_b64 s[0:1], s[10:11], 3
	s_add_u32 s0, s14, s0
	s_addc_u32 s1, s15, s1
	s_load_dwordx2 s[0:1], s[0:1], 0x0
	s_mov_b32 s2, 0x15555556
	v_mul_hi_u32 v61, v0, s2
	s_mov_b32 s23, 0x20000
	s_mov_b32 s22, -2
	s_waitcnt lgkmcnt(0)
	s_mul_i32 s1, s1, s8
	s_mul_hi_u32 s2, s0, s8
	s_mul_i32 s0, s0, s8
	s_add_i32 s1, s2, s1
	v_mul_u32_u24_e32 v1, 12, v61
	s_add_u32 s2, s0, s36
	v_sub_u32_e32 v150, v0, v1
	s_addc_u32 s3, s1, s35
	v_mov_b32_e32 v1, s33
	v_add_co_u32_e32 v59, vcc, s34, v150
	v_addc_co_u32_e32 v60, vcc, 0, v1, vcc
	s_add_u32 s0, s34, 12
	v_mov_b32_e32 v1, s4
	s_addc_u32 s1, s33, 0
	v_mov_b32_e32 v2, s5
	v_mad_u64_u32 v[142:143], s[6:7], s18, v150, 0
	v_mul_lo_u32 v3, s16, v61
	v_cmp_le_u64_e32 vcc, s[0:1], v[1:2]
	v_add_u32_e32 v2, 13, v61
	v_mul_lo_u32 v2, s16, v2
	v_cmp_gt_u64_e64 s[0:1], s[4:5], v[59:60]
	v_add_lshl_u32 v1, v142, v3, 4
	s_or_b64 vcc, vcc, s[0:1]
	s_lshl_b32 s4, s2, 4
	v_cndmask_b32_e32 v9, -1, v1, vcc
	v_add_lshl_u32 v1, v142, v2, 4
	v_cndmask_b32_e32 v10, -1, v1, vcc
	buffer_load_dwordx4 v[1:4], v9, s[20:23], s4 offen
	buffer_load_dwordx4 v[5:8], v10, s[20:23], s4 offen
	v_add_u32_e32 v9, 26, v61
	v_mul_lo_u32 v9, s16, v9
	v_add_u32_e32 v13, 39, v61
	v_mul_lo_u32 v13, s16, v13
	v_add_u32_e32 v14, 52, v61
	v_add_lshl_u32 v9, v142, v9, 4
	v_cndmask_b32_e32 v9, -1, v9, vcc
	buffer_load_dwordx4 v[9:12], v9, s[20:23], s4 offen
	v_add_lshl_u32 v13, v142, v13, 4
	v_add_u32_e32 v15, 0x41, v61
	v_add_u32_e32 v16, 0x4e, v61
	v_cndmask_b32_e32 v13, -1, v13, vcc
	v_mul_lo_u32 v17, s16, v14
	v_mul_lo_u32 v18, s16, v15
	;; [unrolled: 1-line block ×3, first 2 shown]
	buffer_load_dwordx4 v[13:16], v13, s[20:23], s4 offen
	v_add_lshl_u32 v17, v142, v17, 4
	v_add_u32_e32 v19, 0x5b, v61
	v_add_lshl_u32 v18, v142, v18, 4
	v_cndmask_b32_e32 v17, -1, v17, vcc
	v_mul_lo_u32 v22, s16, v19
	v_cndmask_b32_e32 v29, -1, v18, vcc
	buffer_load_dwordx4 v[17:20], v17, s[20:23], s4 offen
	v_add_lshl_u32 v21, v142, v21, 4
	v_add_lshl_u32 v22, v142, v22, 4
	v_cndmask_b32_e32 v30, -1, v21, vcc
	v_cndmask_b32_e32 v31, -1, v22, vcc
	buffer_load_dwordx4 v[25:28], v30, s[20:23], s4 offen
	buffer_load_dwordx4 v[21:24], v31, s[20:23], s4 offen
	buffer_load_dwordx4 v[43:46], v29, s[20:23], s4 offen
	v_add_u32_e32 v30, 0x68, v61
	v_mul_lo_u32 v30, s16, v30
	s_mov_b32 s46, 0x4267c47c
	s_mov_b32 s28, 0x42a4c3d2
	;; [unrolled: 1-line block ×3, first 2 shown]
	v_add_lshl_u32 v30, v142, v30, 4
	v_cndmask_b32_e32 v30, -1, v30, vcc
	buffer_load_dwordx4 v[49:52], v30, s[20:23], s4 offen
	v_add_u32_e32 v29, 0x75, v61
	v_add_u32_e32 v30, 0x82, v61
	v_mul_lo_u32 v29, s16, v29
	v_mul_lo_u32 v30, s16, v30
	s_mov_b32 s14, 0x2ef20147
	s_mov_b32 s24, 0x4bc48dbf
	v_add_lshl_u32 v29, v142, v29, 4
	v_add_lshl_u32 v30, v142, v30, 4
	v_cndmask_b32_e32 v29, -1, v29, vcc
	v_cndmask_b32_e32 v30, -1, v30, vcc
	buffer_load_dwordx4 v[53:56], v29, s[20:23], s4 offen
	buffer_load_dwordx4 v[62:65], v30, s[20:23], s4 offen
	v_add_u32_e32 v29, 0x8f, v61
	v_mul_lo_u32 v29, s16, v29
	v_add_u32_e32 v30, 0x9c, v61
	v_mul_lo_u32 v30, s16, v30
	s_mov_b32 s47, 0xbfddbe06
	v_add_lshl_u32 v29, v142, v29, 4
	v_cndmask_b32_e32 v29, -1, v29, vcc
	buffer_load_dwordx4 v[66:69], v29, s[20:23], s4 offen
	v_add_lshl_u32 v29, v142, v30, 4
	v_cndmask_b32_e32 v29, -1, v29, vcc
	buffer_load_dwordx4 v[70:73], v29, s[20:23], s4 offen
	s_mov_b32 s22, 0x24c2f84
	s_mov_b32 s29, 0xbfea55e2
	;; [unrolled: 1-line block ×19, first 2 shown]
	s_waitcnt vmcnt(11)
	v_add_f64 v[29:30], v[1:2], v[5:6]
	v_add_f64 v[31:32], v[3:4], v[7:8]
	s_mov_b32 s26, s46
	s_mov_b32 s35, 0x3fea55e2
	;; [unrolled: 1-line block ×6, first 2 shown]
	s_waitcnt vmcnt(10)
	v_add_f64 v[29:30], v[29:30], v[9:10]
	v_add_f64 v[31:32], v[31:32], v[11:12]
	s_mov_b32 s44, s14
	s_mov_b32 s41, 0x3fe5384d
	s_mov_b32 s40, s22
	s_mov_b32 s39, 0x3fcea1e5
	s_mov_b32 s38, s24
	s_movk_i32 s18, 0x9c0
	s_waitcnt vmcnt(9)
	v_add_f64 v[29:30], v[29:30], v[13:14]
	v_add_f64 v[31:32], v[31:32], v[15:16]
	s_waitcnt vmcnt(8)
	v_add_f64 v[35:36], v[29:30], v[17:18]
	v_add_f64 v[31:32], v[31:32], v[19:20]
	;; [unrolled: 3-line block ×3, first 2 shown]
	v_add_f64 v[39:40], v[27:28], -v[23:24]
	s_waitcnt vmcnt(5)
	v_add_f64 v[47:48], v[35:36], v[43:44]
	v_add_f64 v[74:75], v[31:32], v[45:46]
	v_add_f64 v[31:32], v[25:26], -v[21:22]
	s_waitcnt vmcnt(4)
	v_add_f64 v[35:36], v[43:44], v[49:50]
	v_add_f64 v[41:42], v[45:46], v[51:52]
	v_add_f64 v[37:38], v[43:44], -v[49:50]
	v_add_f64 v[76:77], v[47:48], v[25:26]
	v_add_f64 v[74:75], v[74:75], v[27:28]
	v_add_f64 v[43:44], v[45:46], -v[51:52]
	v_add_f64 v[76:77], v[76:77], v[21:22]
	v_add_f64 v[74:75], v[74:75], v[23:24]
	s_waitcnt vmcnt(3)
	v_add_f64 v[25:26], v[17:18], v[53:54]
	v_add_f64 v[27:28], v[19:20], v[55:56]
	v_add_f64 v[17:18], v[17:18], -v[53:54]
	v_add_f64 v[45:46], v[19:20], -v[55:56]
	s_waitcnt vmcnt(2)
	v_add_f64 v[19:20], v[13:14], v[62:63]
	v_add_f64 v[47:48], v[15:16], v[64:65]
	;; [unrolled: 1-line block ×4, first 2 shown]
	v_add_f64 v[13:14], v[13:14], -v[62:63]
	v_add_f64 v[21:22], v[15:16], -v[64:65]
	s_waitcnt vmcnt(0)
	v_add_f64 v[78:79], v[7:8], -v[72:73]
	v_add_f64 v[74:75], v[5:6], v[70:71]
	v_add_f64 v[76:77], v[7:8], v[72:73]
	v_add_f64 v[80:81], v[5:6], -v[70:71]
	v_add_f64 v[49:50], v[49:50], v[53:54]
	v_add_f64 v[51:52], v[51:52], v[55:56]
	;; [unrolled: 1-line block ×4, first 2 shown]
	v_mul_f64 v[5:6], v[78:79], s[46:47]
	v_mul_f64 v[7:8], v[78:79], s[28:29]
	;; [unrolled: 1-line block ×6, first 2 shown]
	v_add_f64 v[49:50], v[49:50], v[62:63]
	v_add_f64 v[51:52], v[51:52], v[64:65]
	v_add_f64 v[9:10], v[9:10], -v[66:67]
	v_add_f64 v[11:12], v[11:12], -v[68:69]
	v_mul_f64 v[84:85], v[76:77], s[12:13]
	v_mul_f64 v[86:87], v[76:77], s[10:11]
	v_fma_f64 v[62:63], v[74:75], s[12:13], v[5:6]
	v_fma_f64 v[64:65], v[74:75], s[12:13], -v[5:6]
	v_fma_f64 v[88:89], v[74:75], s[10:11], v[7:8]
	v_fma_f64 v[90:91], v[74:75], s[10:11], -v[7:8]
	;; [unrolled: 2-line block ×3, first 2 shown]
	v_add_f64 v[5:6], v[49:50], v[66:67]
	v_add_f64 v[7:8], v[51:52], v[68:69]
	v_fma_f64 v[49:50], v[74:75], s[6:7], v[55:56]
	v_fma_f64 v[51:52], v[74:75], s[6:7], -v[55:56]
	v_fma_f64 v[55:56], v[74:75], s[4:5], v[82:83]
	v_fma_f64 v[66:67], v[74:75], s[4:5], -v[82:83]
	;; [unrolled: 2-line block ×3, first 2 shown]
	v_mul_f64 v[78:79], v[76:77], s[8:9]
	v_add_f64 v[5:6], v[5:6], v[70:71]
	v_add_f64 v[7:8], v[7:8], v[72:73]
	v_fma_f64 v[70:71], v[80:81], s[26:27], v[84:85]
	v_fma_f64 v[72:73], v[80:81], s[46:47], v[84:85]
	;; [unrolled: 1-line block ×4, first 2 shown]
	v_mul_f64 v[86:87], v[76:77], s[6:7]
	v_fma_f64 v[94:95], v[80:81], s[30:31], v[78:79]
	v_mul_f64 v[96:97], v[76:77], s[4:5]
	v_mul_f64 v[76:77], v[76:77], s[0:1]
	v_fma_f64 v[78:79], v[80:81], s[36:37], v[78:79]
	v_mul_f64 v[104:105], v[23:24], s[10:11]
	v_add_f64 v[62:63], v[1:2], v[62:63]
	v_add_f64 v[70:71], v[3:4], v[70:71]
	v_fma_f64 v[98:99], v[80:81], s[44:45], v[86:87]
	v_fma_f64 v[86:87], v[80:81], s[14:15], v[86:87]
	;; [unrolled: 1-line block ×6, first 2 shown]
	v_add_f64 v[80:81], v[1:2], v[88:89]
	v_add_f64 v[88:89], v[1:2], v[90:91]
	;; [unrolled: 1-line block ×5, first 2 shown]
	v_mul_f64 v[53:54], v[11:12], s[28:29]
	v_add_f64 v[106:107], v[1:2], v[49:50]
	v_add_f64 v[108:109], v[1:2], v[51:52]
	;; [unrolled: 1-line block ×3, first 2 shown]
	v_fma_f64 v[51:52], v[9:10], s[34:35], v[104:105]
	v_mul_f64 v[55:56], v[21:22], s[36:37]
	v_mul_f64 v[112:113], v[47:48], s[8:9]
	v_add_f64 v[114:115], v[1:2], v[66:67]
	v_fma_f64 v[49:50], v[15:16], s[10:11], v[53:54]
	v_add_f64 v[116:117], v[1:2], v[68:69]
	v_mul_f64 v[68:69], v[45:46], s[14:15]
	v_add_f64 v[64:65], v[1:2], v[64:65]
	v_add_f64 v[51:52], v[51:52], v[70:71]
	v_mul_f64 v[70:71], v[27:28], s[6:7]
	v_fma_f64 v[66:67], v[13:14], s[30:31], v[112:113]
	v_add_f64 v[72:73], v[3:4], v[72:73]
	v_add_f64 v[49:50], v[49:50], v[62:63]
	v_fma_f64 v[62:63], v[19:20], s[8:9], v[55:56]
	v_add_f64 v[82:83], v[3:4], v[82:83]
	v_add_f64 v[84:85], v[3:4], v[84:85]
	;; [unrolled: 1-line block ×10, first 2 shown]
	v_fma_f64 v[1:2], v[15:16], s[10:11], -v[53:54]
	v_fma_f64 v[3:4], v[9:10], s[28:29], v[104:105]
	v_add_f64 v[49:50], v[62:63], v[49:50]
	v_add_f64 v[51:52], v[66:67], v[51:52]
	v_fma_f64 v[53:54], v[25:26], s[6:7], v[68:69]
	v_fma_f64 v[62:63], v[17:18], s[44:45], v[70:71]
	v_mul_f64 v[66:67], v[43:44], s[22:23]
	v_mul_f64 v[74:75], v[41:42], s[4:5]
	v_add_f64 v[1:2], v[1:2], v[64:65]
	v_add_f64 v[3:4], v[3:4], v[72:73]
	v_fma_f64 v[55:56], v[19:20], s[8:9], -v[55:56]
	v_fma_f64 v[64:65], v[13:14], s[36:37], v[112:113]
	v_add_f64 v[49:50], v[53:54], v[49:50]
	v_add_f64 v[51:52], v[62:63], v[51:52]
	v_fma_f64 v[53:54], v[35:36], s[4:5], v[66:67]
	v_fma_f64 v[62:63], v[37:38], s[40:41], v[74:75]
	v_mul_f64 v[72:73], v[39:40], s[24:25]
	v_mul_f64 v[76:77], v[33:34], s[0:1]
	v_add_f64 v[1:2], v[55:56], v[1:2]
	v_add_f64 v[3:4], v[64:65], v[3:4]
	;; [unrolled: 10-line block ×17, first 2 shown]
	v_fma_f64 v[82:83], v[25:26], s[8:9], -v[98:99]
	v_fma_f64 v[86:87], v[17:18], s[36:37], v[104:105]
	v_add_f64 v[74:75], v[84:85], v[74:75]
	v_add_f64 v[78:79], v[88:89], v[78:79]
	v_mul_f64 v[84:85], v[11:12], s[30:31]
	v_mul_f64 v[88:89], v[23:24], s[8:9]
	v_fma_f64 v[98:99], v[29:30], s[10:11], v[90:91]
	v_fma_f64 v[104:105], v[31:32], s[28:29], v[106:107]
	v_add_f64 v[82:83], v[82:83], v[76:77]
	v_add_f64 v[80:81], v[86:87], v[80:81]
	v_fma_f64 v[86:87], v[35:36], s[0:1], -v[92:93]
	v_fma_f64 v[92:93], v[37:38], s[38:39], v[94:95]
	v_fma_f64 v[94:95], v[15:16], s[8:9], v[84:85]
	;; [unrolled: 1-line block ×3, first 2 shown]
	v_mul_f64 v[112:113], v[21:22], s[28:29]
	v_mul_f64 v[122:123], v[47:48], s[10:11]
	v_fma_f64 v[84:85], v[15:16], s[8:9], -v[84:85]
	v_fma_f64 v[88:89], v[9:10], s[30:31], v[88:89]
	v_add_f64 v[74:75], v[98:99], v[74:75]
	v_add_f64 v[76:77], v[104:105], v[78:79]
	;; [unrolled: 1-line block ×6, first 2 shown]
	v_fma_f64 v[92:93], v[19:20], s[10:11], v[112:113]
	v_mul_f64 v[98:99], v[45:46], s[38:39]
	v_mul_f64 v[100:101], v[27:28], s[0:1]
	v_fma_f64 v[90:91], v[29:30], s[10:11], -v[90:91]
	v_add_f64 v[84:85], v[84:85], v[114:115]
	v_add_f64 v[88:89], v[88:89], v[96:97]
	v_fma_f64 v[96:97], v[19:20], s[10:11], -v[112:113]
	v_fma_f64 v[110:111], v[13:14], s[28:29], v[122:123]
	v_fma_f64 v[104:105], v[31:32], s[34:35], v[106:107]
	v_add_f64 v[82:83], v[92:93], v[82:83]
	v_fma_f64 v[92:93], v[25:26], s[0:1], v[98:99]
	v_mul_f64 v[106:107], v[43:44], s[26:27]
	v_mul_f64 v[108:109], v[41:42], s[12:13]
	v_add_f64 v[78:79], v[90:91], v[78:79]
	v_add_f64 v[84:85], v[96:97], v[84:85]
	;; [unrolled: 1-line block ×3, first 2 shown]
	v_fma_f64 v[90:91], v[25:26], s[0:1], -v[98:99]
	v_fma_f64 v[96:97], v[17:18], s[38:39], v[100:101]
	v_mul_f64 v[11:12], v[11:12], s[26:27]
	v_mul_f64 v[23:24], v[23:24], s[12:13]
	v_fma_f64 v[94:95], v[13:14], s[34:35], v[122:123]
	v_add_f64 v[82:83], v[92:93], v[82:83]
	v_fma_f64 v[92:93], v[35:36], s[12:13], v[106:107]
	v_add_f64 v[80:81], v[104:105], v[80:81]
	v_add_f64 v[84:85], v[90:91], v[84:85]
	;; [unrolled: 1-line block ×3, first 2 shown]
	v_fma_f64 v[90:91], v[35:36], s[12:13], -v[106:107]
	v_fma_f64 v[96:97], v[37:38], s[26:27], v[108:109]
	v_fma_f64 v[104:105], v[15:16], s[12:13], v[11:12]
	;; [unrolled: 1-line block ×3, first 2 shown]
	v_mul_f64 v[21:22], v[21:22], s[22:23]
	v_mul_f64 v[47:48], v[47:48], s[4:5]
	v_fma_f64 v[11:12], v[15:16], s[12:13], -v[11:12]
	v_fma_f64 v[9:10], v[9:10], s[26:27], v[23:24]
	v_add_f64 v[86:87], v[94:95], v[86:87]
	v_fma_f64 v[94:95], v[17:18], s[24:25], v[100:101]
	v_add_f64 v[84:85], v[90:91], v[84:85]
	v_add_f64 v[88:89], v[96:97], v[88:89]
	;; [unrolled: 1-line block ×4, first 2 shown]
	v_fma_f64 v[90:91], v[19:20], s[4:5], v[21:22]
	v_fma_f64 v[96:97], v[13:14], s[40:41], v[47:48]
	v_mul_f64 v[45:46], v[45:46], s[34:35]
	v_mul_f64 v[27:28], v[27:28], s[10:11]
	v_add_f64 v[11:12], v[11:12], v[118:119]
	v_add_f64 v[9:10], v[9:10], v[120:121]
	v_fma_f64 v[19:20], v[19:20], s[4:5], -v[21:22]
	v_fma_f64 v[13:14], v[13:14], s[22:23], v[47:48]
	v_add_f64 v[86:87], v[94:95], v[86:87]
	v_fma_f64 v[94:95], v[37:38], s[46:47], v[108:109]
	v_add_f64 v[15:16], v[90:91], v[15:16]
	v_add_f64 v[21:22], v[96:97], v[23:24]
	v_fma_f64 v[23:24], v[25:26], s[10:11], v[45:46]
	v_fma_f64 v[47:48], v[17:18], s[28:29], v[27:28]
	v_mul_f64 v[43:44], v[43:44], s[14:15]
	v_mul_f64 v[41:42], v[41:42], s[6:7]
	v_add_f64 v[11:12], v[19:20], v[11:12]
	v_add_f64 v[9:10], v[13:14], v[9:10]
	v_fma_f64 v[13:14], v[25:26], s[10:11], -v[45:46]
	v_fma_f64 v[17:18], v[17:18], s[34:35], v[27:28]
	v_add_f64 v[82:83], v[92:93], v[82:83]
	v_add_f64 v[86:87], v[94:95], v[86:87]
	v_mul_f64 v[92:93], v[39:40], s[14:15]
	v_mul_f64 v[94:95], v[33:34], s[6:7]
	v_add_f64 v[15:16], v[23:24], v[15:16]
	v_add_f64 v[19:20], v[47:48], v[21:22]
	v_fma_f64 v[21:22], v[35:36], s[6:7], v[43:44]
	v_fma_f64 v[23:24], v[37:38], s[44:45], v[41:42]
	v_mul_f64 v[25:26], v[39:40], s[30:31]
	v_mul_f64 v[27:28], v[33:34], s[8:9]
	v_add_f64 v[11:12], v[13:14], v[11:12]
	v_add_f64 v[9:10], v[17:18], v[9:10]
	v_fma_f64 v[13:14], v[35:36], s[6:7], -v[43:44]
	v_fma_f64 v[17:18], v[37:38], s[14:15], v[41:42]
	v_fma_f64 v[98:99], v[29:30], s[6:7], v[92:93]
	;; [unrolled: 1-line block ×3, first 2 shown]
	v_add_f64 v[21:22], v[21:22], v[15:16]
	v_add_f64 v[19:20], v[23:24], v[19:20]
	v_fma_f64 v[23:24], v[29:30], s[8:9], v[25:26]
	v_fma_f64 v[37:38], v[31:32], s[36:37], v[27:28]
	v_add_f64 v[39:40], v[13:14], v[11:12]
	v_add_f64 v[41:42], v[17:18], v[9:10]
	v_fma_f64 v[25:26], v[29:30], s[8:9], -v[25:26]
	v_fma_f64 v[27:28], v[31:32], s[30:31], v[27:28]
	v_fma_f64 v[33:34], v[29:30], s[6:7], -v[92:93]
	v_fma_f64 v[35:36], v[31:32], s[14:15], v[94:95]
	v_add_f64 v[9:10], v[98:99], v[82:83]
	v_add_f64 v[11:12], v[100:101], v[86:87]
	v_add_f64 v[17:18], v[23:24], v[21:22]
	v_add_f64 v[19:20], v[37:38], v[19:20]
	v_mad_u32_u24 v21, v61, s18, 0
	v_add_f64 v[22:23], v[25:26], v[39:40]
	v_add_f64 v[24:25], v[27:28], v[41:42]
	v_lshl_add_u32 v26, v150, 4, v21
	v_add_f64 v[13:14], v[33:34], v[84:85]
	v_add_f64 v[15:16], v[35:36], v[88:89]
	ds_write_b128 v26, v[5:8]
	ds_write_b128 v26, v[49:52] offset:192
	ds_write_b128 v26, v[53:56] offset:384
	;; [unrolled: 1-line block ×12, first 2 shown]
	s_waitcnt lgkmcnt(0)
	s_barrier
	s_and_saveexec_b64 s[48:49], vcc
	s_cbranch_execz .LBB0_17
; %bb.16:
	s_mov_b32 s18, 0x13b13b14
	v_mul_hi_u32 v1, v61, s18
	v_mul_lo_u32 v218, v59, -13
	s_add_i32 s18, 0, 0x7ec0
	v_mul_u32_u24_e32 v1, 13, v1
	v_sub_u32_e32 v2, v61, v1
	v_mul_u32_u24_e32 v1, 12, v2
	v_mov_b32_e32 v3, v2
	buffer_store_dword v3, off, s[52:55], 0 ; 4-byte Folded Spill
	v_lshlrev_b32_e32 v1, 4, v1
	global_load_dwordx4 v[9:12], v1, s[42:43] offset:80
	global_load_dwordx4 v[5:8], v1, s[42:43] offset:96
	global_load_dwordx4 v[17:20], v1, s[42:43] offset:64
	global_load_dwordx4 v[13:16], v1, s[42:43] offset:112
	global_load_dwordx4 v[25:28], v1, s[42:43] offset:48
	global_load_dwordx4 v[53:56], v1, s[42:43] offset:128
	global_load_dwordx4 v[37:40], v1, s[42:43] offset:32
	global_load_dwordx4 v[49:52], v1, s[42:43] offset:144
	global_load_dwordx4 v[29:32], v1, s[42:43] offset:16
	global_load_dwordx4 v[33:36], v1, s[42:43] offset:160
	global_load_dwordx4 v[41:44], v1, s[42:43]
	global_load_dwordx4 v[45:48], v1, s[42:43] offset:176
	v_add_u32_e32 v3, 0x9c, v3
	v_mul_lo_u32 v3, v3, v59
	v_mul_i32_i24_e32 v1, 0xfffff700, v61
	v_lshlrev_b32_e32 v2, 4, v150
	v_add3_u32 v57, v21, v1, v2
	v_lshrrev_b32_e32 v1, 8, v3
	v_lshrrev_b32_e32 v4, 2, v3
	v_and_b32_e32 v1, 0x3f0, v1
	v_and_b32_e32 v2, 63, v3
	v_add_u32_e32 v168, v3, v218
	v_and_b32_e32 v3, 0x3f0, v4
	v_add_u32_e32 v1, s18, v1
	v_lshl_add_u32 v2, v2, 4, 0
	v_add_u32_e32 v3, s18, v3
	ds_read_b128 v[156:159], v1 offset:2048
	ds_read_b128 v[60:63], v2 offset:32448
	;; [unrolled: 1-line block ×3, first 2 shown]
	v_lshrrev_b32_e32 v1, 8, v168
	v_and_b32_e32 v1, 0x3f0, v1
	v_add_u32_e32 v1, s18, v1
	ds_read_b128 v[21:24], v1 offset:2048
	s_waitcnt lgkmcnt(1)
	v_mul_f64 v[1:2], v[60:61], v[66:67]
	v_mul_f64 v[66:67], v[62:63], v[66:67]
	ds_read_b128 v[68:71], v57 offset:14976
	ds_read_b128 v[72:75], v57 offset:17472
	;; [unrolled: 1-line block ×6, first 2 shown]
	v_fma_f64 v[169:170], v[62:63], v[64:65], v[1:2]
	ds_read_b128 v[106:109], v57 offset:7488
	ds_read_b128 v[110:113], v57 offset:4992
	;; [unrolled: 1-line block ×4, first 2 shown]
	ds_read_b128 v[1:4], v57
	ds_read_b128 v[126:129], v57 offset:2496
	ds_read_b128 v[130:133], v57 offset:29952
	v_fma_f64 v[160:161], v[60:61], v[64:65], -v[66:67]
	v_add_u32_e32 v57, v168, v218
	v_mul_f64 v[148:149], v[169:170], v[158:159]
	s_waitcnt vmcnt(11) lgkmcnt(12)
	v_mul_f64 v[60:61], v[70:71], v[11:12]
	s_waitcnt vmcnt(10) lgkmcnt(11)
	;; [unrolled: 2-line block ×3, first 2 shown]
	v_mul_f64 v[64:65], v[82:83], v[19:20]
	v_mul_f64 v[11:12], v[68:69], v[11:12]
	;; [unrolled: 1-line block ×3, first 2 shown]
	s_waitcnt vmcnt(6) lgkmcnt(7)
	v_mul_f64 v[90:91], v[104:105], v[55:56]
	v_mul_f64 v[55:56], v[102:103], v[55:56]
	s_waitcnt vmcnt(5) lgkmcnt(6)
	v_mul_f64 v[118:119], v[108:109], v[39:40]
	s_waitcnt vmcnt(4) lgkmcnt(4)
	v_mul_f64 v[120:121], v[116:117], v[51:52]
	v_mul_f64 v[66:67], v[100:101], v[15:16]
	;; [unrolled: 1-line block ×4, first 2 shown]
	s_waitcnt vmcnt(1) lgkmcnt(1)
	v_mul_f64 v[51:52], v[128:129], v[43:44]
	s_waitcnt vmcnt(0) lgkmcnt(0)
	v_mul_f64 v[140:141], v[132:133], v[47:48]
	v_mul_f64 v[43:44], v[126:127], v[43:44]
	;; [unrolled: 1-line block ×3, first 2 shown]
	v_fma_f64 v[72:73], v[72:73], v[5:6], v[62:63]
	v_fma_f64 v[88:89], v[80:81], v[17:18], v[64:65]
	v_fma_f64 v[64:65], v[104:105], v[53:54], -v[55:56]
	v_fma_f64 v[104:105], v[106:107], v[37:38], v[118:119]
	v_fma_f64 v[62:63], v[114:115], v[49:50], v[120:121]
	v_mul_f64 v[19:20], v[80:81], v[19:20]
	v_mul_f64 v[27:28], v[94:95], v[27:28]
	;; [unrolled: 1-line block ×6, first 2 shown]
	v_fma_f64 v[78:79], v[68:69], v[9:10], v[60:61]
	v_fma_f64 v[84:85], v[70:71], v[9:10], -v[11:12]
	v_fma_f64 v[70:71], v[98:99], v[13:14], v[66:67]
	v_fma_f64 v[94:95], v[94:95], v[25:26], v[86:87]
	;; [unrolled: 1-line block ×3, first 2 shown]
	v_fma_f64 v[60:61], v[116:117], v[49:50], -v[134:135]
	v_fma_f64 v[146:147], v[128:129], v[41:42], -v[43:44]
	;; [unrolled: 1-line block ×3, first 2 shown]
	v_add_f64 v[188:189], v[104:105], -v[62:63]
	v_mul_f64 v[39:40], v[106:107], v[39:40]
	v_fma_f64 v[92:93], v[82:83], v[17:18], -v[19:20]
	v_fma_f64 v[51:52], v[126:127], v[41:42], v[51:52]
	v_fma_f64 v[82:83], v[130:131], v[45:46], v[140:141]
	v_fma_f64 v[144:145], v[112:113], v[29:30], -v[31:32]
	v_fma_f64 v[53:54], v[124:125], v[33:34], -v[35:36]
	v_add_f64 v[41:42], v[94:95], -v[66:67]
	v_add_f64 v[45:46], v[146:147], -v[134:135]
	v_mul_f64 v[9:10], v[188:189], s[36:37]
	v_mul_f64 v[15:16], v[98:99], v[15:16]
	v_fma_f64 v[98:99], v[96:97], v[25:26], -v[27:28]
	v_fma_f64 v[108:109], v[108:109], v[37:38], -v[39:40]
	buffer_store_dword v9, off, s[52:55], 0 offset:36 ; 4-byte Folded Spill
	s_nop 0
	buffer_store_dword v10, off, s[52:55], 0 offset:40 ; 4-byte Folded Spill
	v_add_f64 v[190:191], v[144:145], -v[53:54]
	v_mul_f64 v[11:12], v[45:46], s[46:47]
	v_mul_f64 v[17:18], v[41:42], s[14:15]
	v_fma_f64 v[68:69], v[100:101], v[13:14], -v[15:16]
	buffer_store_dword v11, off, s[52:55], 0 offset:44 ; 4-byte Folded Spill
	s_nop 0
	buffer_store_dword v12, off, s[52:55], 0 offset:48 ; 4-byte Folded Spill
	v_add_f64 v[43:44], v[98:99], -v[64:65]
	v_add_f64 v[186:187], v[108:109], -v[60:61]
	buffer_store_dword v17, off, s[52:55], 0 offset:52 ; 4-byte Folded Spill
	s_nop 0
	buffer_store_dword v18, off, s[52:55], 0 offset:56 ; 4-byte Folded Spill
	v_mul_f64 v[13:14], v[190:191], s[28:29]
	v_fma_f64 v[55:56], v[122:123], v[33:34], v[138:139]
	buffer_store_dword v13, off, s[52:55], 0 offset:28 ; 4-byte Folded Spill
	s_nop 0
	buffer_store_dword v14, off, s[52:55], 0 offset:32 ; 4-byte Folded Spill
	v_mul_f64 v[15:16], v[186:187], s[36:37]
	v_mul_f64 v[33:34], v[43:44], s[14:15]
	buffer_store_dword v15, off, s[52:55], 0 offset:20 ; 4-byte Folded Spill
	s_nop 0
	buffer_store_dword v16, off, s[52:55], 0 offset:24 ; 4-byte Folded Spill
	buffer_store_dword v33, off, s[52:55], 0 offset:12 ; 4-byte Folded Spill
	s_nop 0
	buffer_store_dword v34, off, s[52:55], 0 offset:16 ; 4-byte Folded Spill
	v_fma_f64 v[120:121], v[110:111], v[29:30], v[136:137]
	v_add_f64 v[39:40], v[51:52], -v[82:83]
	v_add_f64 v[128:129], v[146:147], v[134:135]
	v_fma_f64 v[76:77], v[74:75], v[5:6], -v[7:8]
	v_add_f64 v[132:133], v[144:145], v[53:54]
	v_add_f64 v[116:117], v[108:109], v[60:61]
	v_add_f64 v[31:32], v[88:89], -v[70:71]
	v_add_f64 v[112:113], v[98:99], v[64:65]
	v_add_f64 v[47:48], v[120:121], -v[55:56]
	v_mul_f64 v[130:131], v[39:40], s[46:47]
	v_add_f64 v[124:125], v[51:52], v[82:83]
	v_add_f64 v[110:111], v[92:93], v[68:69]
	;; [unrolled: 1-line block ×3, first 2 shown]
	v_add_f64 v[29:30], v[92:93], -v[68:69]
	v_mul_f64 v[138:139], v[31:32], s[22:23]
	v_add_f64 v[25:26], v[84:85], -v[76:77]
	v_mul_f64 v[136:137], v[47:48], s[28:29]
	v_fma_f64 v[5:6], v[128:129], s[12:13], v[130:131]
	v_add_f64 v[90:91], v[94:95], v[66:67]
	v_mul_f64 v[176:177], v[39:40], s[28:29]
	v_add_f64 v[100:101], v[104:105], v[62:63]
	v_mul_f64 v[19:20], v[29:30], s[22:23]
	buffer_store_dword v19, off, s[52:55], 0 offset:4 ; 4-byte Folded Spill
	s_nop 0
	buffer_store_dword v20, off, s[52:55], 0 offset:8 ; 4-byte Folded Spill
	v_fma_f64 v[7:8], v[132:133], s[10:11], v[136:137]
	v_add_f64 v[5:6], v[3:4], v[5:6]
	v_mul_f64 v[174:175], v[47:48], s[14:15]
	v_add_f64 v[27:28], v[78:79], -v[72:73]
	v_mul_f64 v[154:155], v[188:189], s[24:25]
	v_add_f64 v[106:107], v[84:85], v[76:77]
	v_mul_f64 v[152:153], v[41:42], s[40:41]
	v_mul_f64 v[166:167], v[45:46], s[28:29]
	v_add_f64 v[74:75], v[88:89], v[70:71]
	v_add_f64 v[5:6], v[7:8], v[5:6]
	;; [unrolled: 1-line block ×3, first 2 shown]
	v_mul_f64 v[140:141], v[27:28], s[24:25]
	v_mul_f64 v[49:50], v[31:32], s[30:31]
	;; [unrolled: 1-line block ×5, first 2 shown]
	v_fma_f64 v[9:10], v[116:117], s[8:9], v[9:10]
	v_mul_f64 v[182:183], v[41:42], s[26:27]
	v_mul_f64 v[194:195], v[31:32], s[28:29]
	;; [unrolled: 1-line block ×3, first 2 shown]
	v_fma_f64 v[35:36], v[110:111], s[8:9], v[49:50]
	v_fma_f64 v[171:172], v[114:115], s[6:7], -v[164:165]
	v_fma_f64 v[180:181], v[100:101], s[0:1], -v[162:163]
	v_fma_f64 v[192:193], v[116:117], s[6:7], v[184:185]
	v_add_f64 v[5:6], v[9:10], v[5:6]
	v_fma_f64 v[223:224], v[112:113], s[12:13], v[182:183]
	v_fma_f64 v[7:8], v[124:125], s[12:13], -v[11:12]
	v_fma_f64 v[184:185], v[116:117], s[6:7], -v[184:185]
	v_add_f64 v[51:52], v[1:2], v[51:52]
	v_fma_f64 v[11:12], v[112:113], s[6:7], v[17:18]
	v_fma_f64 v[17:18], v[132:133], s[6:7], v[174:175]
	v_add_f64 v[7:8], v[1:2], v[7:8]
	v_add_f64 v[51:52], v[51:52], v[120:121]
	;; [unrolled: 1-line block ×3, first 2 shown]
	v_fma_f64 v[9:10], v[114:115], s[10:11], -v[13:14]
	v_fma_f64 v[13:14], v[110:111], s[4:5], v[138:139]
	v_fma_f64 v[11:12], v[128:129], s[10:11], v[176:177]
	v_add_f64 v[51:52], v[51:52], v[104:105]
	v_add_f64 v[7:8], v[9:10], v[7:8]
	;; [unrolled: 1-line block ×3, first 2 shown]
	v_fma_f64 v[13:14], v[90:91], s[6:7], -v[33:34]
	v_mul_f64 v[33:34], v[25:26], s[24:25]
	buffer_store_dword v33, off, s[52:55], 0 offset:60 ; 4-byte Folded Spill
	s_nop 0
	buffer_store_dword v34, off, s[52:55], 0 offset:64 ; 4-byte Folded Spill
	v_fma_f64 v[15:16], v[100:101], s[8:9], -v[15:16]
	v_add_f64 v[11:12], v[3:4], v[11:12]
	v_fma_f64 v[9:10], v[106:107], s[0:1], v[140:141]
	v_add_f64 v[51:52], v[51:52], v[94:95]
	v_add_f64 v[7:8], v[15:16], v[7:8]
	v_fma_f64 v[15:16], v[116:117], s[0:1], v[154:155]
	v_add_f64 v[11:12], v[17:18], v[11:12]
	v_add_f64 v[5:6], v[9:10], v[5:6]
	v_fma_f64 v[9:10], v[156:157], v[160:161], -v[148:149]
	v_mul_f64 v[148:149], v[27:28], s[26:27]
	v_add_f64 v[51:52], v[51:52], v[88:89]
	v_add_f64 v[7:8], v[13:14], v[7:8]
	v_fma_f64 v[13:14], v[112:113], s[4:5], v[152:153]
	v_add_f64 v[11:12], v[15:16], v[11:12]
	v_fma_f64 v[15:16], v[124:125], s[10:11], -v[166:167]
	v_fma_f64 v[17:18], v[74:75], s[4:5], -v[19:20]
	v_fma_f64 v[37:38], v[106:107], s[12:13], v[148:149]
	v_add_f64 v[51:52], v[51:52], v[78:79]
	v_add_f64 v[178:179], v[1:2], v[15:16]
	v_add_f64 v[7:8], v[17:18], v[7:8]
	v_add_f64 v[51:52], v[51:52], v[72:73]
	v_add_f64 v[171:172], v[171:172], v[178:179]
	v_add_f64 v[51:52], v[51:52], v[70:71]
	v_add_f64 v[51:52], v[51:52], v[66:67]
	v_add_f64 v[51:52], v[51:52], v[62:63]
	v_add_f64 v[51:52], v[51:52], v[55:56]
	v_add_f64 v[51:52], v[51:52], v[82:83]
	v_fma_f64 v[19:20], v[80:81], s[0:1], -v[33:34]
	v_mul_f64 v[33:34], v[160:161], v[158:159]
	v_add_f64 v[158:159], v[13:14], v[11:12]
	v_lshrrev_b32_e32 v12, 2, v168
	v_and_b32_e32 v11, 63, v168
	v_and_b32_e32 v12, 0x3f0, v12
	v_lshl_add_u32 v11, v11, 4, 0
	v_add_u32_e32 v15, s18, v12
	ds_read_b128 v[11:14], v11 offset:32448
	ds_read_b128 v[15:18], v15 offset:1024
	v_mul_f64 v[160:161], v[43:44], s[40:41]
	v_add_f64 v[158:159], v[35:36], v[158:159]
	v_mul_f64 v[35:36], v[39:40], s[36:37]
	v_add_f64 v[204:205], v[19:20], v[7:8]
	s_waitcnt lgkmcnt(0)
	v_mul_f64 v[178:179], v[13:14], v[17:18]
	v_fma_f64 v[7:8], v[156:157], v[169:170], v[33:34]
	v_add_f64 v[169:170], v[180:181], v[171:172]
	v_mul_f64 v[180:181], v[190:191], s[24:25]
	v_fma_f64 v[19:20], v[90:91], s[4:5], -v[160:161]
	v_add_f64 v[206:207], v[37:38], v[158:159]
	v_mul_f64 v[37:38], v[45:46], s[36:37]
	v_mul_f64 v[158:159], v[29:30], s[30:31]
	v_fma_f64 v[208:209], v[11:12], v[15:16], -v[178:179]
	v_mul_f64 v[11:12], v[11:12], v[17:18]
	v_mul_f64 v[33:34], v[47:48], s[24:25]
	v_fma_f64 v[171:172], v[128:129], s[8:9], v[35:36]
	v_add_f64 v[19:20], v[19:20], v[169:170]
	v_mul_f64 v[178:179], v[186:187], s[44:45]
	v_mul_f64 v[156:157], v[25:26], s[26:27]
	v_fma_f64 v[17:18], v[74:75], s[8:9], -v[158:159]
	v_fma_f64 v[35:36], v[128:129], s[8:9], -v[35:36]
	v_fma_f64 v[15:16], v[13:14], v[15:16], v[11:12]
	v_fma_f64 v[11:12], v[124:125], s[8:9], -v[37:38]
	v_fma_f64 v[13:14], v[114:115], s[0:1], -v[180:181]
	v_fma_f64 v[169:170], v[132:133], s[0:1], v[33:34]
	v_add_f64 v[171:172], v[3:4], v[171:172]
	v_fma_f64 v[210:211], v[80:81], s[12:13], -v[156:157]
	v_add_f64 v[212:213], v[17:18], v[19:20]
	v_lshrrev_b32_e32 v17, 8, v57
	v_and_b32_e32 v17, 0x3f0, v17
	v_add_f64 v[11:12], v[1:2], v[11:12]
	v_add_u32_e32 v58, s18, v17
	v_and_b32_e32 v17, 63, v57
	v_lshl_add_u32 v86, v17, 4, 0
	v_fma_f64 v[17:18], v[100:101], s[6:7], -v[178:179]
	v_add_f64 v[172:173], v[169:170], v[171:172]
	v_mul_f64 v[168:169], v[43:44], s[26:27]
	v_mul_f64 v[170:171], v[29:30], s[28:29]
	v_add_f64 v[19:20], v[13:14], v[11:12]
	ds_read_b128 v[11:14], v58 offset:2048
	ds_read_b128 v[196:199], v86 offset:32448
	v_lshrrev_b32_e32 v58, 2, v57
	v_and_b32_e32 v58, 0x3f0, v58
	v_add_u32_e32 v58, s18, v58
	ds_read_b128 v[200:203], v58 offset:1024
	v_add_u32_e32 v57, v57, v218
	v_fma_f64 v[214:215], v[90:91], s[12:13], -v[168:169]
	v_add_f64 v[219:220], v[17:18], v[19:20]
	v_lshrrev_b32_e32 v17, 8, v57
	v_and_b32_e32 v17, 0x3f0, v17
	v_add_u32_e32 v17, s18, v17
	ds_read_b128 v[17:20], v17 offset:2048
	s_waitcnt lgkmcnt(1)
	v_mul_f64 v[221:222], v[198:199], v[202:203]
	v_add_f64 v[225:226], v[192:193], v[172:173]
	v_mul_f64 v[202:203], v[196:197], v[202:203]
	v_mul_f64 v[172:173], v[25:26], s[22:23]
	v_fma_f64 v[227:228], v[74:75], s[10:11], -v[170:171]
	v_add_f64 v[214:215], v[214:215], v[219:220]
	v_mul_f64 v[219:220], v[208:209], v[23:24]
	v_mul_f64 v[192:193], v[27:28], s[22:23]
	v_fma_f64 v[196:197], v[196:197], v[200:201], -v[221:222]
	v_fma_f64 v[221:222], v[110:111], s[10:11], v[194:195]
	v_add_f64 v[223:224], v[223:224], v[225:226]
	v_fma_f64 v[198:199], v[198:199], v[200:201], v[202:203]
	v_fma_f64 v[200:201], v[80:81], s[4:5], -v[172:173]
	v_add_f64 v[202:203], v[227:228], v[214:215]
	v_mul_f64 v[23:24], v[15:16], v[23:24]
	v_add_f64 v[210:211], v[210:211], v[212:213]
	v_mul_f64 v[214:215], v[196:197], v[13:14]
	v_fma_f64 v[15:16], v[21:22], v[15:16], v[219:220]
	v_fma_f64 v[212:213], v[106:107], s[4:5], v[192:193]
	v_add_f64 v[219:220], v[221:222], v[223:224]
	v_mul_f64 v[13:14], v[198:199], v[13:14]
	v_add_f64 v[202:203], v[200:201], v[202:203]
	v_mul_f64 v[221:222], v[5:6], v[7:8]
	v_fma_f64 v[21:22], v[21:22], v[208:209], -v[23:24]
	v_fma_f64 v[198:199], v[11:12], v[198:199], v[214:215]
	v_mul_f64 v[214:215], v[204:205], v[7:8]
	v_mul_f64 v[23:24], v[210:211], v[15:16]
	;; [unrolled: 1-line block ×3, first 2 shown]
	v_add_f64 v[208:209], v[212:213], v[219:220]
	v_fma_f64 v[13:14], v[11:12], v[196:197], -v[13:14]
	v_and_b32_e32 v58, 63, v57
	v_lshrrev_b32_e32 v86, 2, v57
	v_mul_f64 v[196:197], v[202:203], v[198:199]
	v_lshl_add_u32 v58, v58, 4, 0
	v_and_b32_e32 v86, 0x3f0, v86
	v_fma_f64 v[7:8], v[5:6], v[9:10], -v[214:215]
	v_fma_f64 v[5:6], v[204:205], v[9:10], v[221:222]
	v_fma_f64 v[11:12], v[206:207], v[21:22], -v[23:24]
	v_fma_f64 v[9:10], v[210:211], v[21:22], v[15:16]
	v_mul_f64 v[21:22], v[208:209], v[198:199]
	v_fma_f64 v[15:16], v[208:209], v[13:14], -v[196:197]
	v_add_u32_e32 v86, s18, v86
	ds_read_b128 v[204:207], v58 offset:32448
	ds_read_b128 v[208:211], v86 offset:1024
	v_mul_f64 v[200:201], v[39:40], s[14:15]
	v_add_u32_e32 v219, v57, v218
	v_and_b32_e32 v57, 63, v219
	v_lshl_add_u32 v57, v57, 4, 0
	s_waitcnt lgkmcnt(0)
	v_mul_f64 v[214:215], v[206:207], v[210:211]
	v_mul_f64 v[236:237], v[204:205], v[210:211]
	ds_read_b128 v[210:213], v57 offset:32448
	v_lshrrev_b32_e32 v57, 2, v219
	v_and_b32_e32 v57, 0x3f0, v57
	v_add_u32_e32 v57, s18, v57
	ds_read_b128 v[220:223], v57 offset:1024
	v_mul_f64 v[198:199], v[47:48], s[40:41]
	v_fma_f64 v[23:24], v[128:129], s[6:7], v[200:201]
	v_mul_f64 v[196:197], v[45:46], s[14:15]
	v_add_u32_e32 v57, v219, v218
	v_and_b32_e32 v86, 63, v57
	v_lshrrev_b32_e32 v87, 2, v57
	v_lshl_add_u32 v86, v86, 4, 0
	v_and_b32_e32 v87, 0x3f0, v87
	v_add_u32_e32 v87, s18, v87
	ds_read_b128 v[224:227], v86 offset:32448
	ds_read_b128 v[228:231], v87 offset:1024
	s_waitcnt lgkmcnt(2)
	v_mul_f64 v[238:239], v[212:213], v[222:223]
	v_mul_f64 v[222:223], v[210:211], v[222:223]
	v_add_u32_e32 v217, v57, v218
	v_lshrrev_b32_e32 v58, 8, v57
	v_and_b32_e32 v57, 63, v217
	v_lshl_add_u32 v57, v57, 4, 0
	v_fma_f64 v[13:14], v[202:203], v[13:14], v[21:22]
	v_fma_f64 v[21:22], v[132:133], s[4:5], v[198:199]
	v_add_f64 v[23:24], v[3:4], v[23:24]
	s_waitcnt lgkmcnt(0)
	v_mul_f64 v[240:241], v[226:227], v[230:231]
	v_mul_f64 v[230:231], v[224:225], v[230:231]
	v_fma_f64 v[214:215], v[204:205], v[208:209], -v[214:215]
	v_fma_f64 v[236:237], v[206:207], v[208:209], v[236:237]
	v_mul_f64 v[204:205], v[190:191], s[40:41]
	v_fma_f64 v[242:243], v[124:125], s[6:7], -v[196:197]
	ds_read_b128 v[206:209], v57 offset:32448
	v_lshrrev_b32_e32 v57, 2, v217
	v_and_b32_e32 v58, 0x3f0, v58
	v_and_b32_e32 v57, 0x3f0, v57
	v_add_u32_e32 v58, s18, v58
	v_add_u32_e32 v57, s18, v57
	ds_read_b128 v[232:235], v58 offset:2048
	v_fma_f64 v[238:239], v[210:211], v[220:221], -v[238:239]
	v_fma_f64 v[244:245], v[212:213], v[220:221], v[222:223]
	ds_read_b128 v[210:213], v57 offset:1024
	v_mul_f64 v[202:203], v[188:189], s[26:27]
	v_fma_f64 v[224:225], v[224:225], v[228:229], -v[240:241]
	v_fma_f64 v[226:227], v[226:227], v[228:229], v[230:231]
	v_add_f64 v[21:22], v[21:22], v[23:24]
	s_waitcnt lgkmcnt(0)
	v_mul_f64 v[228:229], v[208:209], v[212:213]
	v_mul_f64 v[212:213], v[206:207], v[212:213]
	v_fma_f64 v[23:24], v[114:115], s[4:5], -v[204:205]
	v_add_f64 v[240:241], v[1:2], v[242:243]
	v_mul_f64 v[242:243], v[186:187], s[26:27]
	v_fma_f64 v[230:231], v[116:117], s[12:13], v[202:203]
	v_add_u32_e32 v216, v217, v218
	v_lshrrev_b32_e32 v57, 8, v216
	v_fma_f64 v[228:229], v[206:207], v[210:211], -v[228:229]
	v_fma_f64 v[246:247], v[208:209], v[210:211], v[212:213]
	v_mul_f64 v[206:207], v[236:237], v[19:20]
	v_mul_f64 v[19:20], v[214:215], v[19:20]
	;; [unrolled: 1-line block ×3, first 2 shown]
	v_add_f64 v[23:24], v[23:24], v[240:241]
	v_fma_f64 v[240:241], v[100:101], s[12:13], -v[242:243]
	v_add_f64 v[21:22], v[230:231], v[21:22]
	v_mul_f64 v[208:209], v[31:32], s[38:39]
	v_mul_f64 v[210:211], v[29:30], s[38:39]
	v_fma_f64 v[230:231], v[17:18], v[214:215], -v[206:207]
	v_fma_f64 v[206:207], v[112:113], s[8:9], v[248:249]
	v_fma_f64 v[17:18], v[17:18], v[236:237], v[19:20]
	v_fma_f64 v[19:20], v[90:91], s[8:9], -v[212:213]
	v_add_f64 v[23:24], v[240:241], v[23:24]
	v_mul_f64 v[214:215], v[27:28], s[34:35]
	v_fma_f64 v[236:237], v[110:111], s[0:1], v[208:209]
	v_fma_f64 v[240:241], v[74:75], s[0:1], -v[210:211]
	v_and_b32_e32 v57, 0x3f0, v57
	v_add_f64 v[21:22], v[206:207], v[21:22]
	v_mul_f64 v[206:207], v[25:26], s[34:35]
	v_add_u32_e32 v57, s18, v57
	v_add_f64 v[19:20], v[19:20], v[23:24]
	ds_read_b128 v[220:223], v57 offset:2048
	v_fma_f64 v[33:34], v[132:133], s[0:1], -v[33:34]
	v_add_f64 v[35:36], v[3:4], v[35:36]
	v_fma_f64 v[158:159], v[74:75], s[8:9], v[158:159]
	v_add_f64 v[21:22], v[236:237], v[21:22]
	v_fma_f64 v[23:24], v[80:81], s[10:11], -v[206:207]
	v_fma_f64 v[236:237], v[106:107], s[10:11], v[214:215]
	v_add_f64 v[19:20], v[240:241], v[19:20]
	v_add_f64 v[33:34], v[33:34], v[35:36]
	;; [unrolled: 1-line block ×4, first 2 shown]
	v_lshrrev_b32_e32 v21, 8, v219
	v_and_b32_e32 v21, 0x3f0, v21
	v_add_u32_e32 v21, s18, v21
	ds_read_b128 v[21:24], v21 offset:2048
	v_mul_f64 v[57:58], v[190:191], s[30:31]
	v_mul_f64 v[190:191], v[190:191], s[26:27]
	;; [unrolled: 1-line block ×4, first 2 shown]
	v_fma_f64 v[86:87], v[114:115], s[8:9], -v[57:58]
	v_fma_f64 v[19:20], v[19:20], v[230:231], -v[236:237]
	v_fma_f64 v[17:18], v[240:241], v[230:231], v[17:18]
	s_waitcnt lgkmcnt(0)
	v_mul_f64 v[230:231], v[244:245], v[23:24]
	v_mul_f64 v[23:24], v[238:239], v[23:24]
	;; [unrolled: 1-line block ×4, first 2 shown]
	v_fma_f64 v[230:231], v[21:22], v[238:239], -v[230:231]
	v_mul_f64 v[238:239], v[47:48], s[30:31]
	v_fma_f64 v[21:22], v[21:22], v[244:245], v[23:24]
	v_fma_f64 v[23:24], v[128:129], s[4:5], v[236:237]
	v_mul_f64 v[244:245], v[188:189], s[28:29]
	v_mul_f64 v[47:48], v[47:48], s[26:27]
	;; [unrolled: 1-line block ×3, first 2 shown]
	v_fma_f64 v[240:241], v[132:133], s[8:9], v[238:239]
	v_add_f64 v[23:24], v[3:4], v[23:24]
	v_add_f64 v[23:24], v[240:241], v[23:24]
	v_fma_f64 v[240:241], v[116:117], s[10:11], v[244:245]
	v_add_f64 v[23:24], v[240:241], v[23:24]
	v_mul_f64 v[240:241], v[41:42], s[38:39]
	v_mul_f64 v[41:42], v[41:42], s[34:35]
	v_fma_f64 v[250:251], v[112:113], s[0:1], v[240:241]
	v_add_f64 v[23:24], v[250:251], v[23:24]
	v_mul_f64 v[250:251], v[31:32], s[26:27]
	v_mul_f64 v[31:32], v[31:32], s[14:15]
	;; [unrolled: 4-line block ×3, first 2 shown]
	v_fma_f64 v[254:255], v[124:125], s[4:5], -v[252:253]
	v_add_f64 v[254:255], v[1:2], v[254:255]
	v_add_f64 v[86:87], v[86:87], v[254:255]
	v_mul_f64 v[254:255], v[186:187], s[28:29]
	v_mul_f64 v[186:187], v[186:187], s[22:23]
	v_fma_f64 v[96:97], v[100:101], s[10:11], -v[254:255]
	v_add_f64 v[86:87], v[96:97], v[86:87]
	v_mul_f64 v[96:97], v[43:44], s[38:39]
	v_mul_f64 v[43:44], v[43:44], s[34:35]
	v_fma_f64 v[102:103], v[90:91], s[0:1], -v[96:97]
	v_fma_f64 v[96:97], v[90:91], s[0:1], v[96:97]
	v_add_f64 v[86:87], v[102:103], v[86:87]
	v_mul_f64 v[102:103], v[29:30], s[26:27]
	v_mul_f64 v[29:30], v[29:30], s[14:15]
	v_fma_f64 v[118:119], v[74:75], s[12:13], -v[102:103]
	v_add_f64 v[86:87], v[118:119], v[86:87]
	v_mul_f64 v[118:119], v[25:26], s[14:15]
	v_fma_f64 v[122:123], v[80:81], s[6:7], -v[118:119]
	v_add_f64 v[86:87], v[122:123], v[86:87]
	v_mul_f64 v[122:123], v[27:28], s[14:15]
	v_mul_f64 v[27:28], v[27:28], s[30:31]
	v_fma_f64 v[126:127], v[106:107], s[6:7], v[122:123]
	v_add_f64 v[23:24], v[126:127], v[23:24]
	v_mul_f64 v[126:127], v[86:87], v[21:22]
	v_mul_f64 v[21:22], v[23:24], v[21:22]
	v_fma_f64 v[23:24], v[23:24], v[230:231], -v[126:127]
	v_mul_f64 v[126:127], v[224:225], v[234:235]
	v_fma_f64 v[21:22], v[86:87], v[230:231], v[21:22]
	v_mul_f64 v[86:87], v[226:227], v[234:235]
	v_fma_f64 v[126:127], v[232:233], v[226:227], v[126:127]
	v_fma_f64 v[226:227], v[132:133], s[12:13], v[47:48]
	v_fma_f64 v[230:231], v[114:115], s[12:13], -v[190:191]
	v_fma_f64 v[86:87], v[232:233], v[224:225], -v[86:87]
	v_mad_u64_u32 v[224:225], s[28:29], s19, v150, v[143:144]
	v_add_u32_e32 v150, v216, v218
	v_mov_b32_e32 v143, v224
	v_fma_f64 v[224:225], v[128:129], s[0:1], v[39:40]
	v_add_f64 v[224:225], v[3:4], v[224:225]
	v_add_f64 v[224:225], v[226:227], v[224:225]
	v_fma_f64 v[226:227], v[116:117], s[4:5], v[188:189]
	v_add_f64 v[224:225], v[226:227], v[224:225]
	v_fma_f64 v[226:227], v[112:113], s[10:11], v[41:42]
	v_add_f64 v[224:225], v[226:227], v[224:225]
	v_fma_f64 v[226:227], v[110:111], s[6:7], v[31:32]
	v_fma_f64 v[31:32], v[110:111], s[6:7], -v[31:32]
	v_add_f64 v[224:225], v[226:227], v[224:225]
	v_fma_f64 v[226:227], v[106:107], s[8:9], v[27:28]
	v_add_f64 v[224:225], v[226:227], v[224:225]
	v_fma_f64 v[226:227], v[124:125], s[0:1], -v[45:46]
	v_add_f64 v[226:227], v[1:2], v[226:227]
	v_add_f64 v[226:227], v[230:231], v[226:227]
	v_fma_f64 v[230:231], v[100:101], s[4:5], -v[186:187]
	v_add_f64 v[226:227], v[230:231], v[226:227]
	v_fma_f64 v[230:231], v[90:91], s[10:11], -v[43:44]
	;; [unrolled: 2-line block ×3, first 2 shown]
	v_fma_f64 v[29:30], v[74:75], s[6:7], v[29:30]
	v_add_f64 v[226:227], v[230:231], v[226:227]
	v_mul_f64 v[230:231], v[25:26], s[30:31]
	v_fma_f64 v[25:26], v[80:81], s[8:9], -v[230:231]
	v_add_f64 v[226:227], v[25:26], v[226:227]
	v_fma_f64 v[25:26], v[128:129], s[0:1], -v[39:40]
	v_fma_f64 v[39:40], v[132:133], s[12:13], -v[47:48]
	v_fma_f64 v[47:48], v[114:115], s[8:9], v[57:58]
	v_fma_f64 v[57:58], v[116:117], s[10:11], -v[244:245]
	v_add_f64 v[25:26], v[3:4], v[25:26]
	v_add_f64 v[25:26], v[39:40], v[25:26]
	v_fma_f64 v[39:40], v[116:117], s[4:5], -v[188:189]
	v_fma_f64 v[188:189], v[80:81], s[8:9], v[230:231]
	v_add_f64 v[25:26], v[39:40], v[25:26]
	v_fma_f64 v[39:40], v[112:113], s[10:11], -v[41:42]
	v_fma_f64 v[41:42], v[132:133], s[8:9], -v[238:239]
	v_add_f64 v[25:26], v[39:40], v[25:26]
	v_fma_f64 v[39:40], v[114:115], s[12:13], v[190:191]
	v_add_f64 v[31:32], v[31:32], v[25:26]
	v_fma_f64 v[25:26], v[124:125], s[0:1], v[45:46]
	v_fma_f64 v[45:46], v[124:125], s[4:5], v[252:253]
	v_add_f64 v[25:26], v[1:2], v[25:26]
	v_add_f64 v[45:46], v[1:2], v[45:46]
	;; [unrolled: 1-line block ×3, first 2 shown]
	v_fma_f64 v[39:40], v[100:101], s[4:5], v[186:187]
	v_add_f64 v[25:26], v[39:40], v[25:26]
	v_fma_f64 v[39:40], v[90:91], s[10:11], v[43:44]
	v_fma_f64 v[43:44], v[106:107], s[8:9], -v[27:28]
	v_lshrrev_b32_e32 v27, 8, v217
	v_and_b32_e32 v27, 0x3f0, v27
	v_add_u32_e32 v27, s18, v27
	v_add_f64 v[39:40], v[39:40], v[25:26]
	v_fma_f64 v[25:26], v[128:129], s[4:5], -v[236:237]
	v_add_f64 v[43:44], v[43:44], v[31:32]
	v_add_f64 v[31:32], v[47:48], v[45:46]
	v_fma_f64 v[45:46], v[112:113], s[0:1], -v[240:241]
	v_add_f64 v[190:191], v[29:30], v[39:40]
	v_add_f64 v[25:26], v[3:4], v[25:26]
	v_fma_f64 v[29:30], v[100:101], s[10:11], v[254:255]
	v_lshrrev_b32_e32 v40, 2, v216
	v_and_b32_e32 v39, 63, v216
	v_and_b32_e32 v40, 0x3f0, v40
	v_lshl_add_u32 v39, v39, 4, 0
	v_add_u32_e32 v40, s18, v40
	v_add_f64 v[188:189], v[188:189], v[190:191]
	v_add_f64 v[41:42], v[41:42], v[25:26]
	ds_read_b128 v[25:28], v27 offset:2048
	v_mul_f64 v[190:191], v[226:227], v[126:127]
	v_mul_f64 v[126:127], v[224:225], v[126:127]
	s_waitcnt lgkmcnt(0)
	v_mul_f64 v[186:187], v[246:247], v[27:28]
	v_add_f64 v[47:48], v[57:58], v[41:42]
	v_add_f64 v[57:58], v[29:30], v[31:32]
	ds_read_b128 v[29:32], v39 offset:32448
	ds_read_b128 v[39:42], v40 offset:1024
	v_fma_f64 v[186:187], v[25:26], v[228:229], -v[186:187]
	v_mul_f64 v[228:229], v[228:229], v[27:28]
	v_add_f64 v[45:46], v[45:46], v[47:48]
	s_waitcnt lgkmcnt(0)
	v_mul_f64 v[47:48], v[31:32], v[41:42]
	v_add_f64 v[57:58], v[96:97], v[57:58]
	v_mul_f64 v[41:42], v[29:30], v[41:42]
	v_fma_f64 v[96:97], v[74:75], s[12:13], v[102:103]
	v_fma_f64 v[102:103], v[106:107], s[6:7], -v[122:123]
	v_fma_f64 v[122:123], v[128:129], s[6:7], -v[200:201]
	;; [unrolled: 1-line block ×3, first 2 shown]
	v_fma_f64 v[25:26], v[25:26], v[246:247], v[228:229]
	v_fma_f64 v[47:48], v[29:30], v[39:40], -v[47:48]
	v_fma_f64 v[29:30], v[110:111], s[12:13], -v[250:251]
	v_fma_f64 v[31:32], v[31:32], v[39:40], v[41:42]
	v_fma_f64 v[39:40], v[80:81], s[6:7], v[118:119]
	v_add_f64 v[41:42], v[96:97], v[57:58]
	v_fma_f64 v[96:97], v[132:133], s[4:5], -v[198:199]
	v_add_f64 v[118:119], v[3:4], v[122:123]
	v_mul_f64 v[122:123], v[43:44], v[25:26]
	v_mul_f64 v[57:58], v[47:48], v[222:223]
	v_add_f64 v[29:30], v[29:30], v[45:46]
	v_mul_f64 v[190:191], v[31:32], v[222:223]
	v_mul_f64 v[45:46], v[188:189], v[25:26]
	v_add_f64 v[222:223], v[39:40], v[41:42]
	v_fma_f64 v[25:26], v[226:227], v[86:87], v[126:127]
	v_add_f64 v[86:87], v[96:97], v[118:119]
	v_fma_f64 v[41:42], v[116:117], s[12:13], -v[202:203]
	v_fma_f64 v[39:40], v[220:221], v[31:32], v[57:58]
	v_add_f64 v[57:58], v[102:103], v[29:30]
	v_fma_f64 v[29:30], v[188:189], v[186:187], v[122:123]
	v_fma_f64 v[31:32], v[43:44], v[186:187], -v[45:46]
	v_fma_f64 v[43:44], v[220:221], v[47:48], -v[190:191]
	v_fma_f64 v[45:46], v[114:115], s[4:5], v[204:205]
	v_fma_f64 v[118:119], v[112:113], s[8:9], -v[248:249]
	v_add_f64 v[86:87], v[41:42], v[86:87]
	v_mul_f64 v[96:97], v[222:223], v[39:40]
	v_mul_f64 v[102:103], v[57:58], v[39:40]
	v_fma_f64 v[39:40], v[124:125], s[6:7], v[196:197]
	v_lshrrev_b32_e32 v41, 8, v150
	v_and_b32_e32 v41, 0x3f0, v41
	v_and_b32_e32 v42, 63, v150
	v_add_u32_e32 v41, s18, v41
	v_lshl_add_u32 v122, v42, 4, 0
	v_add_u32_e32 v196, v150, v218
	v_fma_f64 v[201:202], v[90:91], s[8:9], v[212:213]
	v_add_f64 v[47:48], v[1:2], v[39:40]
	ds_read_b128 v[39:42], v41 offset:2048
	ds_read_b128 v[186:189], v122 offset:32448
	v_lshrrev_b32_e32 v122, 2, v150
	v_and_b32_e32 v122, 0x3f0, v122
	v_add_u32_e32 v151, s18, v122
	v_fma_f64 v[122:123], v[100:101], s[12:13], v[242:243]
	ds_read_b128 v[197:200], v151 offset:1024
	v_add_f64 v[86:87], v[118:119], v[86:87]
	v_add_f64 v[126:127], v[45:46], v[47:48]
	v_lshrrev_b32_e32 v45, 8, v196
	v_and_b32_e32 v45, 0x3f0, v45
	v_add_u32_e32 v45, s18, v45
	ds_read_b128 v[45:48], v45 offset:2048
	s_waitcnt lgkmcnt(1)
	v_mul_f64 v[190:191], v[186:187], v[199:200]
	v_fma_f64 v[35:36], v[57:58], v[43:44], -v[96:97]
	v_add_u32_e32 v150, v196, v218
	v_add_f64 v[122:123], v[122:123], v[126:127]
	v_mul_f64 v[126:127], v[188:189], v[199:200]
	v_fma_f64 v[199:200], v[110:111], s[0:1], -v[208:209]
	v_fma_f64 v[118:119], v[188:189], v[197:198], v[190:191]
	v_fma_f64 v[188:189], v[74:75], s[0:1], v[210:211]
	v_add_f64 v[122:123], v[201:202], v[122:123]
	v_fma_f64 v[126:127], v[186:187], v[197:198], -v[126:127]
	v_fma_f64 v[186:187], v[106:107], s[10:11], -v[214:215]
	v_add_f64 v[86:87], v[199:200], v[86:87]
	v_add_f64 v[199:200], v[184:185], v[33:34]
	v_mul_f64 v[190:191], v[118:119], v[41:42]
	v_fma_f64 v[197:198], v[80:81], s[10:11], v[206:207]
	v_fma_f64 v[33:34], v[222:223], v[43:44], v[102:103]
	v_add_f64 v[122:123], v[188:189], v[122:123]
	v_mul_f64 v[41:42], v[126:127], v[41:42]
	v_fma_f64 v[188:189], v[112:113], s[12:13], -v[182:183]
	v_add_f64 v[186:187], v[186:187], v[86:87]
	v_fma_f64 v[86:87], v[110:111], s[10:11], -v[194:195]
	v_fma_f64 v[182:183], v[39:40], v[126:127], -v[190:191]
	v_fma_f64 v[102:103], v[124:125], s[8:9], v[37:38]
	v_fma_f64 v[194:195], v[128:129], s[10:11], -v[176:177]
	v_add_f64 v[184:185], v[197:198], v[122:123]
	v_fma_f64 v[57:58], v[39:40], v[118:119], v[41:42]
	v_add_f64 v[96:97], v[188:189], v[199:200]
	v_lshrrev_b32_e32 v40, 2, v196
	v_and_b32_e32 v39, 63, v196
	v_and_b32_e32 v37, 0x3f0, v40
	v_lshl_add_u32 v39, v39, 4, 0
	v_add_u32_e32 v41, s18, v37
	ds_read_b128 v[37:40], v39 offset:32448
	ds_read_b128 v[41:44], v41 offset:1024
	v_fma_f64 v[118:119], v[106:107], s[4:5], -v[192:193]
	v_add_f64 v[86:87], v[86:87], v[96:97]
	v_fma_f64 v[96:97], v[114:115], s[0:1], v[180:181]
	v_add_f64 v[102:103], v[1:2], v[102:103]
	s_waitcnt lgkmcnt(0)
	v_mul_f64 v[122:123], v[39:40], v[43:44]
	v_mul_f64 v[188:189], v[184:185], v[57:58]
	;; [unrolled: 1-line block ×4, first 2 shown]
	v_fma_f64 v[57:58], v[124:125], s[10:11], v[166:167]
	v_add_f64 v[176:177], v[118:119], v[86:87]
	v_fma_f64 v[43:44], v[100:101], s[6:7], v[178:179]
	v_add_f64 v[86:87], v[3:4], v[194:195]
	v_fma_f64 v[178:179], v[37:38], v[41:42], -v[122:123]
	v_fma_f64 v[37:38], v[132:133], s[6:7], -v[174:175]
	v_add_f64 v[192:193], v[96:97], v[102:103]
	v_fma_f64 v[96:97], v[39:40], v[41:42], v[190:191]
	v_fma_f64 v[39:40], v[114:115], s[6:7], v[164:165]
	v_add_f64 v[41:42], v[1:2], v[57:58]
	v_fma_f64 v[118:119], v[90:91], s[12:13], v[168:169]
	v_fma_f64 v[126:127], v[116:117], s[0:1], -v[154:155]
	v_fma_f64 v[102:103], v[74:75], s[10:11], v[170:171]
	v_add_f64 v[57:58], v[37:38], v[86:87]
	v_lshrrev_b32_e32 v37, 8, v150
	v_and_b32_e32 v37, 0x3f0, v37
	v_add_f64 v[122:123], v[43:44], v[192:193]
	v_add_u32_e32 v43, s18, v37
	v_fma_f64 v[37:38], v[100:101], s[0:1], v[162:163]
	v_add_f64 v[39:40], v[39:40], v[41:42]
	v_and_b32_e32 v44, 63, v150
	v_lshl_add_u32 v86, v44, 4, 0
	ds_read_b128 v[41:44], v43 offset:2048
	ds_read_b128 v[162:165], v86 offset:32448
	v_lshrrev_b32_e32 v86, 2, v150
	v_and_b32_e32 v86, 0x3f0, v86
	v_add_u32_e32 v151, s18, v86
	ds_read_b128 v[166:169], v151 offset:1024
	v_fma_f64 v[86:87], v[90:91], s[4:5], v[160:161]
	v_add_u32_e32 v160, v150, v218
	v_add_f64 v[154:155], v[37:38], v[39:40]
	v_lshrrev_b32_e32 v37, 8, v160
	v_and_b32_e32 v37, 0x3f0, v37
	v_add_u32_e32 v37, s18, v37
	ds_read_b128 v[37:40], v37 offset:2048
	s_waitcnt lgkmcnt(1)
	v_mul_f64 v[170:171], v[164:165], v[168:169]
	v_add_f64 v[118:119], v[118:119], v[122:123]
	v_fma_f64 v[122:123], v[80:81], s[4:5], v[172:173]
	v_fma_f64 v[172:173], v[112:113], s[4:5], -v[152:153]
	v_add_f64 v[57:58], v[126:127], v[57:58]
	v_mul_f64 v[126:127], v[162:163], v[168:169]
	v_add_f64 v[86:87], v[86:87], v[154:155]
	v_fma_f64 v[152:153], v[162:163], v[166:167], -v[170:171]
	v_fma_f64 v[161:162], v[110:111], s[8:9], -v[49:50]
	buffer_load_dword v49, off, s[52:55], 0 offset:52 ; 4-byte Folded Reload
	buffer_load_dword v50, off, s[52:55], 0 offset:56 ; 4-byte Folded Reload
	v_add_f64 v[102:103], v[102:103], v[118:119]
	v_mul_f64 v[118:119], v[178:179], v[47:48]
	v_fma_f64 v[126:127], v[164:165], v[166:167], v[126:127]
	v_fma_f64 v[163:164], v[80:81], s[12:13], v[156:157]
	v_add_f64 v[86:87], v[158:159], v[86:87]
	v_mul_f64 v[167:168], v[96:97], v[47:48]
	v_mul_f64 v[165:166], v[152:153], v[43:44]
	v_fma_f64 v[156:157], v[106:107], s[12:13], -v[148:149]
	v_add_f64 v[150:151], v[122:123], v[102:103]
	v_fma_f64 v[154:155], v[45:46], v[96:97], v[118:119]
	v_mul_f64 v[43:44], v[126:127], v[43:44]
	v_add_f64 v[57:58], v[172:173], v[57:58]
	v_add_f64 v[47:48], v[163:164], v[86:87]
	v_fma_f64 v[45:46], v[45:46], v[178:179], -v[167:168]
	v_fma_f64 v[148:149], v[41:42], v[126:127], v[165:166]
	v_fma_f64 v[126:127], v[128:129], s[12:13], -v[130:131]
	v_mul_f64 v[86:87], v[150:151], v[154:155]
	v_mul_f64 v[96:97], v[176:177], v[154:155]
	v_add_f64 v[158:159], v[161:162], v[57:58]
	v_add_f64 v[57:58], v[3:4], v[146:147]
	v_fma_f64 v[118:119], v[41:42], v[152:153], -v[43:44]
	v_mul_f64 v[122:123], v[47:48], v[148:149]
	v_add_f64 v[3:4], v[3:4], v[126:127]
	v_fma_f64 v[43:44], v[186:187], v[182:183], -v[188:189]
	v_fma_f64 v[130:131], v[176:177], v[45:46], -v[86:87]
	v_fma_f64 v[86:87], v[106:107], s[0:1], -v[140:141]
	v_fma_f64 v[128:129], v[150:151], v[45:46], v[96:97]
	v_add_f64 v[57:58], v[57:58], v[144:145]
	v_fma_f64 v[45:46], v[132:133], s[10:11], -v[136:137]
	v_fma_f64 v[96:97], v[110:111], s[4:5], -v[138:139]
	v_add_f64 v[102:103], v[156:157], v[158:159]
	v_fma_f64 v[41:42], v[184:185], v[182:183], v[180:181]
	v_add_f64 v[57:58], v[57:58], v[108:109]
	v_add_f64 v[45:46], v[45:46], v[3:4]
	v_lshrrev_b32_e32 v4, 2, v160
	v_and_b32_e32 v3, 63, v160
	v_lshl_add_u32 v3, v3, 4, 0
	v_fma_f64 v[120:121], v[102:103], v[118:119], -v[122:123]
	v_add_f64 v[57:58], v[57:58], v[98:99]
	v_add_f64 v[57:58], v[57:58], v[92:93]
	;; [unrolled: 1-line block ×5, first 2 shown]
	s_waitcnt vmcnt(0)
	v_fma_f64 v[104:105], v[112:113], s[6:7], -v[49:50]
	buffer_load_dword v49, off, s[52:55], 0 offset:36 ; 4-byte Folded Reload
	buffer_load_dword v50, off, s[52:55], 0 offset:40 ; 4-byte Folded Reload
	v_add_f64 v[57:58], v[57:58], v[64:65]
	v_add_f64 v[57:58], v[57:58], v[60:61]
	;; [unrolled: 1-line block ×3, first 2 shown]
	v_mul_f64 v[57:58], v[102:103], v[148:149]
	v_fma_f64 v[118:119], v[47:48], v[118:119], v[57:58]
	s_waitcnt vmcnt(0)
	v_fma_f64 v[106:107], v[116:117], s[8:9], -v[49:50]
	buffer_load_dword v49, off, s[52:55], 0 offset:44 ; 4-byte Folded Reload
	buffer_load_dword v50, off, s[52:55], 0 offset:48 ; 4-byte Folded Reload
	v_add_f64 v[45:46], v[106:107], v[45:46]
	v_add_f64 v[45:46], v[104:105], v[45:46]
	;; [unrolled: 1-line block ×4, first 2 shown]
	s_waitcnt vmcnt(0)
	v_fma_f64 v[108:109], v[124:125], s[12:13], v[49:50]
	buffer_load_dword v49, off, s[52:55], 0 offset:28 ; 4-byte Folded Reload
	buffer_load_dword v50, off, s[52:55], 0 offset:32 ; 4-byte Folded Reload
	v_add_f64 v[108:109], v[1:2], v[108:109]
	v_and_b32_e32 v1, 0x3f0, v4
	s_waitcnt vmcnt(0)
	v_fma_f64 v[98:99], v[114:115], s[10:11], v[49:50]
	v_add_u32_e32 v49, s18, v1
	ds_read_b128 v[1:4], v3 offset:32448
	ds_read_b128 v[92:95], v49 offset:1024
	buffer_load_dword v49, off, s[52:55], 0 offset:20 ; 4-byte Folded Reload
	buffer_load_dword v50, off, s[52:55], 0 offset:24 ; 4-byte Folded Reload
	s_waitcnt lgkmcnt(0)
	v_mul_f64 v[84:85], v[3:4], v[94:95]
	v_add_f64 v[98:99], v[98:99], v[108:109]
	v_mul_f64 v[94:95], v[1:2], v[94:95]
	v_fma_f64 v[1:2], v[1:2], v[92:93], -v[84:85]
	v_fma_f64 v[3:4], v[3:4], v[92:93], v[94:95]
	s_waitcnt vmcnt(0)
	v_fma_f64 v[88:89], v[100:101], s[8:9], v[49:50]
	buffer_load_dword v49, off, s[52:55], 0 offset:12 ; 4-byte Folded Reload
	buffer_load_dword v50, off, s[52:55], 0 offset:16 ; 4-byte Folded Reload
	buffer_load_dword v106, off, s[52:55], 0 ; 4-byte Folded Reload
	v_add_f64 v[98:99], v[88:89], v[98:99]
	s_waitcnt vmcnt(1)
	v_fma_f64 v[100:101], v[90:91], s[6:7], v[49:50]
	s_waitcnt vmcnt(0)
	v_mul_lo_u32 v49, v106, v59
	v_lshrrev_b32_e32 v50, 8, v49
	v_and_b32_e32 v59, 63, v49
	v_lshrrev_b32_e32 v49, 2, v49
	v_and_b32_e32 v50, 0x3f0, v50
	v_and_b32_e32 v49, 0x3f0, v49
	v_add_u32_e32 v50, s18, v50
	v_add_u32_e32 v49, s18, v49
	v_lshl_add_u32 v59, v59, 4, 0
	ds_read_b128 v[76:79], v50 offset:2048
	ds_read_b128 v[88:91], v59 offset:32448
	;; [unrolled: 1-line block ×3, first 2 shown]
	buffer_load_dword v49, off, s[52:55], 0 offset:4 ; 4-byte Folded Reload
	buffer_load_dword v50, off, s[52:55], 0 offset:8 ; 4-byte Folded Reload
	s_waitcnt lgkmcnt(0)
	v_mul_f64 v[66:67], v[90:91], v[72:73]
	v_mul_f64 v[72:73], v[88:89], v[72:73]
	v_fma_f64 v[62:63], v[88:89], v[70:71], -v[66:67]
	v_fma_f64 v[59:60], v[90:91], v[70:71], v[72:73]
	v_mul_f64 v[55:56], v[62:63], v[78:79]
	v_fma_f64 v[55:56], v[76:77], v[59:60], v[55:56]
	s_waitcnt vmcnt(0)
	v_fma_f64 v[68:69], v[74:75], s[4:5], v[49:50]
	buffer_load_dword v49, off, s[52:55], 0 offset:60 ; 4-byte Folded Reload
	buffer_load_dword v50, off, s[52:55], 0 offset:64 ; 4-byte Folded Reload
	v_add_f64 v[74:75], v[100:101], v[98:99]
	v_add_f64 v[66:67], v[68:69], v[74:75]
	v_mul_f64 v[68:69], v[1:2], v[39:40]
	v_mul_f64 v[39:40], v[3:4], v[39:40]
	v_fma_f64 v[3:4], v[37:38], v[3:4], v[68:69]
	v_fma_f64 v[37:38], v[37:38], v[1:2], -v[39:40]
	v_mul_f64 v[39:40], v[45:46], v[3:4]
	s_waitcnt vmcnt(0)
	v_fma_f64 v[64:65], v[80:81], s[0:1], v[49:50]
	s_mov_b32 s0, 0x1a41a42
	v_add_f64 v[49:50], v[53:54], v[134:135]
	v_mul_hi_u32 v0, v0, s0
	s_movk_i32 s0, 0xa9
	v_add_f64 v[64:65], v[64:65], v[66:67]
	v_mul_f64 v[66:67], v[59:60], v[78:79]
	v_mul_f64 v[59:60], v[51:52], v[55:56]
	;; [unrolled: 1-line block ×4, first 2 shown]
	v_fma_f64 v[53:54], v[76:77], v[62:63], -v[66:67]
	v_mad_u32_u24 v63, v0, s0, v106
	v_mad_u64_u32 v[61:62], s[0:1], s16, v63, 0
	v_mov_b32_e32 v0, v62
	v_fma_f64 v[2:3], v[45:46], v[37:38], -v[1:2]
	v_mad_u64_u32 v[45:46], s[0:1], s17, v63, v[0:1]
	s_lshl_b64 s[0:1], s[2:3], 4
	s_add_u32 s0, s20, s0
	v_mov_b32_e32 v62, v45
	v_lshlrev_b64 v[45:46], 4, v[142:143]
	v_fma_f64 v[0:1], v[64:65], v[37:38], v[39:40]
	v_fma_f64 v[39:40], v[49:50], v[53:54], -v[59:60]
	s_addc_u32 s1, s21, s1
	v_add_u32_e32 v49, 13, v63
	v_fma_f64 v[37:38], v[51:52], v[53:54], v[55:56]
	v_mov_b32_e32 v4, s1
	v_add_co_u32_e32 v51, vcc, s0, v45
	v_mad_u64_u32 v[47:48], s[0:1], s16, v49, 0
	v_addc_co_u32_e32 v52, vcc, v4, v46, vcc
	v_mov_b32_e32 v4, v48
	v_lshlrev_b64 v[45:46], 4, v[61:62]
	v_mad_u64_u32 v[48:49], s[0:1], s17, v49, v[4:5]
	v_add_u32_e32 v53, 26, v63
	v_add_co_u32_e32 v45, vcc, v51, v45
	v_mad_u64_u32 v[49:50], s[0:1], s16, v53, 0
	v_addc_co_u32_e32 v46, vcc, v52, v46, vcc
	global_store_dwordx4 v[45:46], v[37:40], off
	v_mov_b32_e32 v4, v50
	v_lshlrev_b64 v[37:38], 4, v[47:48]
	v_mad_u64_u32 v[39:40], s[0:1], s17, v53, v[4:5]
	v_add_co_u32_e32 v37, vcc, v51, v37
	v_addc_co_u32_e32 v38, vcc, v52, v38, vcc
	v_add_u32_e32 v4, 39, v63
	global_store_dwordx4 v[37:38], v[0:3], off
	v_mov_b32_e32 v50, v39
	v_mad_u64_u32 v[2:3], s[0:1], s16, v4, 0
	v_lshlrev_b64 v[0:1], 4, v[49:50]
	v_mad_u64_u32 v[3:4], s[0:1], s17, v4, v[3:4]
	v_add_u32_e32 v4, 52, v63
	v_mad_u64_u32 v[37:38], s[0:1], s16, v4, 0
	v_add_co_u32_e32 v0, vcc, v51, v0
	v_addc_co_u32_e32 v1, vcc, v52, v1, vcc
	global_store_dwordx4 v[0:1], v[118:121], off
	v_lshlrev_b64 v[0:1], 4, v[2:3]
	v_mov_b32_e32 v2, v38
	v_mad_u64_u32 v[2:3], s[0:1], s17, v4, v[2:3]
	v_add_u32_e32 v4, 0x41, v63
	v_add_co_u32_e32 v0, vcc, v51, v0
	v_mov_b32_e32 v38, v2
	v_mad_u64_u32 v[2:3], s[0:1], s16, v4, 0
	v_addc_co_u32_e32 v1, vcc, v52, v1, vcc
	v_mad_u64_u32 v[3:4], s[0:1], s17, v4, v[3:4]
	v_add_u32_e32 v4, 0x4e, v63
	global_store_dwordx4 v[0:1], v[128:131], off
	v_lshlrev_b64 v[0:1], 4, v[37:38]
	v_mad_u64_u32 v[37:38], s[0:1], s16, v4, 0
	v_add_co_u32_e32 v0, vcc, v51, v0
	v_addc_co_u32_e32 v1, vcc, v52, v1, vcc
	global_store_dwordx4 v[0:1], v[41:44], off
	v_lshlrev_b64 v[0:1], 4, v[2:3]
	v_mov_b32_e32 v2, v38
	v_mad_u64_u32 v[2:3], s[0:1], s17, v4, v[2:3]
	v_add_u32_e32 v4, 0x5b, v63
	v_add_co_u32_e32 v0, vcc, v51, v0
	v_mov_b32_e32 v38, v2
	v_mad_u64_u32 v[2:3], s[0:1], s16, v4, 0
	v_addc_co_u32_e32 v1, vcc, v52, v1, vcc
	v_mad_u64_u32 v[3:4], s[0:1], s17, v4, v[3:4]
	v_add_u32_e32 v4, 0x68, v63
	global_store_dwordx4 v[0:1], v[33:36], off
	v_lshlrev_b64 v[0:1], 4, v[37:38]
	;; [unrolled: 16-line block ×4, first 2 shown]
	v_mad_u64_u32 v[17:18], s[0:1], s16, v4, 0
	v_add_co_u32_e32 v0, vcc, v51, v0
	v_addc_co_u32_e32 v1, vcc, v52, v1, vcc
	global_store_dwordx4 v[0:1], v[13:16], off
	v_lshlrev_b64 v[0:1], 4, v[2:3]
	v_mov_b32_e32 v2, v18
	v_mad_u64_u32 v[2:3], s[0:1], s17, v4, v[2:3]
	v_add_co_u32_e32 v0, vcc, v51, v0
	v_addc_co_u32_e32 v1, vcc, v52, v1, vcc
	v_mov_b32_e32 v18, v2
	global_store_dwordx4 v[0:1], v[9:12], off
	v_lshlrev_b64 v[0:1], 4, v[17:18]
	v_add_co_u32_e32 v0, vcc, v51, v0
	v_addc_co_u32_e32 v1, vcc, v52, v1, vcc
	global_store_dwordx4 v[0:1], v[5:8], off
.LBB0_17:
	s_endpgm
	.section	.rodata,"a",@progbits
	.p2align	6, 0x0
	.amdhsa_kernel fft_rtc_back_len169_factors_13_13_wgs_156_tpt_13_dp_ip_CI_sbcc_twdbase6_3step_dirReg_intrinsicRead
		.amdhsa_group_segment_fixed_size 0
		.amdhsa_private_segment_fixed_size 72
		.amdhsa_kernarg_size 96
		.amdhsa_user_sgpr_count 6
		.amdhsa_user_sgpr_private_segment_buffer 1
		.amdhsa_user_sgpr_dispatch_ptr 0
		.amdhsa_user_sgpr_queue_ptr 0
		.amdhsa_user_sgpr_kernarg_segment_ptr 1
		.amdhsa_user_sgpr_dispatch_id 0
		.amdhsa_user_sgpr_flat_scratch_init 0
		.amdhsa_user_sgpr_private_segment_size 0
		.amdhsa_uses_dynamic_stack 0
		.amdhsa_system_sgpr_private_segment_wavefront_offset 1
		.amdhsa_system_sgpr_workgroup_id_x 1
		.amdhsa_system_sgpr_workgroup_id_y 0
		.amdhsa_system_sgpr_workgroup_id_z 0
		.amdhsa_system_sgpr_workgroup_info 0
		.amdhsa_system_vgpr_workitem_id 0
		.amdhsa_next_free_vgpr 256
		.amdhsa_next_free_sgpr 56
		.amdhsa_reserve_vcc 1
		.amdhsa_reserve_flat_scratch 0
		.amdhsa_float_round_mode_32 0
		.amdhsa_float_round_mode_16_64 0
		.amdhsa_float_denorm_mode_32 3
		.amdhsa_float_denorm_mode_16_64 3
		.amdhsa_dx10_clamp 1
		.amdhsa_ieee_mode 1
		.amdhsa_fp16_overflow 0
		.amdhsa_exception_fp_ieee_invalid_op 0
		.amdhsa_exception_fp_denorm_src 0
		.amdhsa_exception_fp_ieee_div_zero 0
		.amdhsa_exception_fp_ieee_overflow 0
		.amdhsa_exception_fp_ieee_underflow 0
		.amdhsa_exception_fp_ieee_inexact 0
		.amdhsa_exception_int_div_zero 0
	.end_amdhsa_kernel
	.text
.Lfunc_end0:
	.size	fft_rtc_back_len169_factors_13_13_wgs_156_tpt_13_dp_ip_CI_sbcc_twdbase6_3step_dirReg_intrinsicRead, .Lfunc_end0-fft_rtc_back_len169_factors_13_13_wgs_156_tpt_13_dp_ip_CI_sbcc_twdbase6_3step_dirReg_intrinsicRead
                                        ; -- End function
	.section	.AMDGPU.csdata,"",@progbits
; Kernel info:
; codeLenInByte = 13184
; NumSgprs: 60
; NumVgprs: 256
; ScratchSize: 72
; MemoryBound: 0
; FloatMode: 240
; IeeeMode: 1
; LDSByteSize: 0 bytes/workgroup (compile time only)
; SGPRBlocks: 7
; VGPRBlocks: 63
; NumSGPRsForWavesPerEU: 60
; NumVGPRsForWavesPerEU: 256
; Occupancy: 1
; WaveLimiterHint : 1
; COMPUTE_PGM_RSRC2:SCRATCH_EN: 1
; COMPUTE_PGM_RSRC2:USER_SGPR: 6
; COMPUTE_PGM_RSRC2:TRAP_HANDLER: 0
; COMPUTE_PGM_RSRC2:TGID_X_EN: 1
; COMPUTE_PGM_RSRC2:TGID_Y_EN: 0
; COMPUTE_PGM_RSRC2:TGID_Z_EN: 0
; COMPUTE_PGM_RSRC2:TIDIG_COMP_CNT: 0
	.type	__hip_cuid_99a549b3ad28e06e,@object ; @__hip_cuid_99a549b3ad28e06e
	.section	.bss,"aw",@nobits
	.globl	__hip_cuid_99a549b3ad28e06e
__hip_cuid_99a549b3ad28e06e:
	.byte	0                               ; 0x0
	.size	__hip_cuid_99a549b3ad28e06e, 1

	.ident	"AMD clang version 19.0.0git (https://github.com/RadeonOpenCompute/llvm-project roc-6.4.0 25133 c7fe45cf4b819c5991fe208aaa96edf142730f1d)"
	.section	".note.GNU-stack","",@progbits
	.addrsig
	.addrsig_sym __hip_cuid_99a549b3ad28e06e
	.amdgpu_metadata
---
amdhsa.kernels:
  - .args:
      - .actual_access:  read_only
        .address_space:  global
        .offset:         0
        .size:           8
        .value_kind:     global_buffer
      - .address_space:  global
        .offset:         8
        .size:           8
        .value_kind:     global_buffer
      - .offset:         16
        .size:           8
        .value_kind:     by_value
      - .actual_access:  read_only
        .address_space:  global
        .offset:         24
        .size:           8
        .value_kind:     global_buffer
      - .actual_access:  read_only
        .address_space:  global
        .offset:         32
        .size:           8
        .value_kind:     global_buffer
      - .offset:         40
        .size:           8
        .value_kind:     by_value
      - .actual_access:  read_only
        .address_space:  global
        .offset:         48
        .size:           8
        .value_kind:     global_buffer
      - .actual_access:  read_only
        .address_space:  global
        .offset:         56
        .size:           8
        .value_kind:     global_buffer
      - .offset:         64
        .size:           4
        .value_kind:     by_value
      - .actual_access:  read_only
        .address_space:  global
        .offset:         72
        .size:           8
        .value_kind:     global_buffer
      - .actual_access:  read_only
        .address_space:  global
        .offset:         80
        .size:           8
        .value_kind:     global_buffer
      - .address_space:  global
        .offset:         88
        .size:           8
        .value_kind:     global_buffer
    .group_segment_fixed_size: 0
    .kernarg_segment_align: 8
    .kernarg_segment_size: 96
    .language:       OpenCL C
    .language_version:
      - 2
      - 0
    .max_flat_workgroup_size: 156
    .name:           fft_rtc_back_len169_factors_13_13_wgs_156_tpt_13_dp_ip_CI_sbcc_twdbase6_3step_dirReg_intrinsicRead
    .private_segment_fixed_size: 72
    .sgpr_count:     60
    .sgpr_spill_count: 0
    .symbol:         fft_rtc_back_len169_factors_13_13_wgs_156_tpt_13_dp_ip_CI_sbcc_twdbase6_3step_dirReg_intrinsicRead.kd
    .uniform_work_group_size: 1
    .uses_dynamic_stack: false
    .vgpr_count:     256
    .vgpr_spill_count: 17
    .wavefront_size: 64
amdhsa.target:   amdgcn-amd-amdhsa--gfx906
amdhsa.version:
  - 1
  - 2
...

	.end_amdgpu_metadata
